;; amdgpu-corpus repo=ROCm/rocPRIM kind=compiled arch=gfx1100 opt=O3
	.text
	.amdgcn_target "amdgcn-amd-amdhsa--gfx1100"
	.amdhsa_code_object_version 6
	.section	.text._Z20warp_exchange_kernelILj64ELj16EN6common25StripedToBlockedShuffleOpE12hip_bfloat16EvPT2_S4_b,"axG",@progbits,_Z20warp_exchange_kernelILj64ELj16EN6common25StripedToBlockedShuffleOpE12hip_bfloat16EvPT2_S4_b,comdat
	.protected	_Z20warp_exchange_kernelILj64ELj16EN6common25StripedToBlockedShuffleOpE12hip_bfloat16EvPT2_S4_b ; -- Begin function _Z20warp_exchange_kernelILj64ELj16EN6common25StripedToBlockedShuffleOpE12hip_bfloat16EvPT2_S4_b
	.globl	_Z20warp_exchange_kernelILj64ELj16EN6common25StripedToBlockedShuffleOpE12hip_bfloat16EvPT2_S4_b
	.p2align	8
	.type	_Z20warp_exchange_kernelILj64ELj16EN6common25StripedToBlockedShuffleOpE12hip_bfloat16EvPT2_S4_b,@function
_Z20warp_exchange_kernelILj64ELj16EN6common25StripedToBlockedShuffleOpE12hip_bfloat16EvPT2_S4_b: ; @_Z20warp_exchange_kernelILj64ELj16EN6common25StripedToBlockedShuffleOpE12hip_bfloat16EvPT2_S4_b
; %bb.0:
	s_load_b128 s[4:7], s[0:1], 0x0
	v_lshlrev_b32_e32 v1, 7, v0
	s_load_b32 s0, s[0:1], 0x10
	v_mbcnt_lo_u32_b32 v98, -1, 0
	v_lshlrev_b32_e32 v97, 6, v0
	s_waitcnt lgkmcnt(0)
	s_clause 0x7
	global_load_b128 v[29:32], v1, s[4:5] offset:32
	global_load_b128 v[25:28], v1, s[4:5] offset:48
	;; [unrolled: 1-line block ×6, first 2 shown]
	global_load_b128 v[5:8], v1, s[4:5]
	global_load_b128 v[1:4], v1, s[4:5] offset:16
	s_bitcmp0_b32 s0, 0
	s_mov_b32 s0, 0
	s_waitcnt vmcnt(7)
	v_lshrrev_b32_e32 v135, 16, v29
	v_lshrrev_b32_e32 v134, 16, v30
	v_lshrrev_b32_e32 v133, 16, v31
	v_lshrrev_b32_e32 v132, 16, v32
	s_waitcnt vmcnt(6)
	v_lshrrev_b32_e32 v127, 16, v25
	v_lshrrev_b32_e32 v125, 16, v26
	v_lshrrev_b32_e32 v122, 16, v27
	v_lshrrev_b32_e32 v120, 16, v28
	;; [unrolled: 5-line block ×6, first 2 shown]
	v_and_b32_e32 v145, 0xffff, v29
	v_and_b32_e32 v144, 0xffff, v30
	;; [unrolled: 1-line block ×24, first 2 shown]
	s_cbranch_scc0 .LBB0_2
; %bb.1:
	v_and_b32_e32 v33, 16, v98
	v_add_nc_u32_e32 v34, 12, v98
	v_add_nc_u32_e32 v43, 4, v98
	v_lshlrev_b32_e32 v42, 2, v98
	v_bfe_u32 v77, v98, 2, 2
	s_waitcnt vmcnt(1)
	scratch_store_b128 off, v[5:8], off
	s_waitcnt vmcnt(0)
	s_clause 0x2
	scratch_store_b128 off, v[1:4], off offset:16
	scratch_store_b128 off, v[29:32], off offset:32
	;; [unrolled: 1-line block ×3, first 2 shown]
	v_and_or_b32 v34, v34, 15, v33
	v_and_or_b32 v33, v43, 15, v33
	v_xor_b32_e32 v42, 32, v42
	v_add_nc_u32_e32 v86, 3, v77
	v_lshl_or_b32 v82, v77, 1, 0
	v_lshlrev_b32_e32 v41, 2, v34
	v_lshlrev_b32_e32 v43, 2, v33
	ds_bpermute_b32 v53, v42, v137
	ds_bpermute_b32 v56, v42, v116
	;; [unrolled: 1-line block ×20, first 2 shown]
	v_and_b32_e32 v87, 3, v86
	v_xor_b32_e32 v77, 2, v77
	ds_bpermute_b32 v50, v41, v122
	ds_bpermute_b32 v55, v42, v136
	;; [unrolled: 1-line block ×10, first 2 shown]
	s_clause 0x3
	scratch_store_b128 off, v[21:24], off offset:64
	scratch_store_b128 off, v[17:20], off offset:80
	;; [unrolled: 1-line block ×4, first 2 shown]
	ds_bpermute_b32 v61, v42, v129
	ds_bpermute_b32 v75, v43, v102
	s_clause 0x7
	scratch_store_b16 v82, v5, off
	scratch_store_d16_hi_b16 v82, v5, off offset:8
	scratch_store_b16 v82, v6, off offset:16
	scratch_store_d16_hi_b16 v82, v6, off offset:24
	scratch_store_b16 v82, v7, off offset:32
	;; [unrolled: 2-line block ×3, first 2 shown]
	scratch_store_d16_hi_b16 v82, v8, off offset:56
	v_lshlrev_b32_e32 v86, 1, v86
	s_clause 0x7
	scratch_store_b16 v82, v1, off offset:64
	scratch_store_d16_hi_b16 v82, v1, off offset:72
	scratch_store_b16 v82, v2, off offset:80
	scratch_store_d16_hi_b16 v82, v2, off offset:88
	;; [unrolled: 2-line block ×4, first 2 shown]
	v_lshl_or_b32 v82, v87, 1, 0
	v_add_nc_u32_e32 v94, 3, v77
	ds_bpermute_b32 v62, v42, v109
	ds_bpermute_b32 v63, v42, v128
	;; [unrolled: 1-line block ×8, first 2 shown]
	v_or3_b32 v87, 0, v86, 8
	s_waitcnt lgkmcnt(36)
	scratch_store_b16 v82, v34, off
	s_waitcnt lgkmcnt(35)
	scratch_store_b16 v82, v36, off offset:16
	s_waitcnt lgkmcnt(34)
	scratch_store_b16 v82, v38, off offset:32
	;; [unrolled: 2-line block ×7, first 2 shown]
	v_lshlrev_b32_e32 v82, 1, v94
	ds_bpermute_b32 v66, v42, v107
	ds_bpermute_b32 v67, v42, v124
	;; [unrolled: 1-line block ×3, first 2 shown]
	v_or_b32_e32 v88, 24, v86
	ds_bpermute_b32 v68, v42, v106
	ds_bpermute_b32 v79, v43, v114
	;; [unrolled: 1-line block ×4, first 2 shown]
	v_or_b32_e32 v89, 40, v86
	v_and_b32_e32 v36, 3, v94
	ds_bpermute_b32 v85, v43, v0
	v_or_b32_e32 v90, 56, v86
	v_or_b32_e32 v91, 0x48, v86
	;; [unrolled: 1-line block ×3, first 2 shown]
	v_lshl_or_b32 v77, v77, 1, 0
	v_or_b32_e32 v92, 0x58, v86
	v_or_b32_e32 v93, 0x68, v86
	s_clause 0x2
	scratch_store_b16 v87, v35, off
	scratch_store_b16 v88, v37, off
	;; [unrolled: 1-line block ×3, first 2 shown]
	s_waitcnt lgkmcnt(33)
	scratch_store_b16 v90, v44, off
	s_waitcnt lgkmcnt(32)
	scratch_store_b16 v91, v46, off
	;; [unrolled: 2-line block ×5, first 2 shown]
	v_or3_b32 v34, 0, v82, 8
	v_or_b32_e32 v37, 24, v82
	v_or_b32_e32 v44, 40, v82
	v_lshl_or_b32 v86, v36, 1, 0
	s_clause 0x2
	scratch_store_b16 v77, v53, off
	scratch_store_b16 v77, v54, off offset:8
	scratch_store_b16 v77, v55, off offset:16
	s_waitcnt lgkmcnt(20)
	s_clause 0x2
	scratch_store_b16 v86, v33, off
	scratch_store_b16 v77, v56, off offset:24
	scratch_store_b16 v34, v69, off
	scratch_load_b128 v[33:36], off, off
	s_clause 0x1
	scratch_store_b16 v77, v57, off offset:32
	scratch_store_b16 v77, v58, off offset:40
	s_waitcnt lgkmcnt(19)
	s_clause 0x1
	scratch_store_b16 v86, v70, off offset:16
	scratch_store_b16 v37, v71, off
	v_or_b32_e32 v48, 56, v82
	scratch_load_b128 v[37:40], off, off offset:16
	s_clause 0x1
	scratch_store_b16 v77, v59, off offset:48
	scratch_store_b16 v77, v60, off offset:56
	s_waitcnt lgkmcnt(18)
	s_clause 0x1
	scratch_store_b16 v86, v72, off offset:32
	scratch_store_b16 v44, v73, off
	v_or_b32_e32 v52, 0x48, v82
	scratch_load_b128 v[44:47], off, off offset:32
	s_waitcnt lgkmcnt(17)
	scratch_store_b16 v77, v61, off offset:64
	s_waitcnt lgkmcnt(15)
	scratch_store_b16 v77, v62, off offset:72
	s_waitcnt lgkmcnt(11)
	s_clause 0x1
	scratch_store_b16 v86, v74, off offset:48
	scratch_store_b16 v48, v75, off
	v_or_b32_e32 v56, 0x58, v82
	scratch_load_b128 v[48:51], off, off offset:48
	s_clause 0x1
	scratch_store_b16 v77, v63, off offset:80
	scratch_store_b16 v77, v64, off offset:88
	s_waitcnt lgkmcnt(10)
	s_clause 0x1
	scratch_store_b16 v86, v76, off offset:64
	scratch_store_b16 v52, v78, off
	v_or_b32_e32 v60, 0x68, v82
	scratch_load_b128 v[52:55], off, off offset:64
	v_or_b32_e32 v64, 0x78, v82
	s_waitcnt lgkmcnt(9)
	scratch_store_b16 v77, v65, off offset:96
	s_waitcnt lgkmcnt(7)
	scratch_store_b16 v77, v66, off offset:104
	s_waitcnt lgkmcnt(3)
	s_clause 0x1
	scratch_store_b16 v86, v79, off offset:80
	scratch_store_b16 v56, v80, off
	scratch_load_b128 v[56:59], off, off offset:80
	s_clause 0x2
	scratch_store_b16 v77, v67, off offset:112
	scratch_store_b16 v77, v68, off offset:120
	scratch_store_b16 v60, v83, off
	s_waitcnt lgkmcnt(2)
	scratch_store_b16 v86, v81, off offset:96
	scratch_load_b128 v[60:63], off, off offset:96
	s_waitcnt lgkmcnt(1)
	scratch_store_b16 v86, v84, off offset:112
	s_waitcnt lgkmcnt(0)
	scratch_store_b16 v64, v85, off
	scratch_load_b128 v[64:67], off, off offset:112
	v_add_nc_u32_e32 v68, -1, v98
	v_and_b32_e32 v69, 3, v98
	s_delay_alu instid0(VALU_DEP_2) | instskip(NEXT) | instid1(VALU_DEP_2)
	v_and_b32_e32 v68, 3, v68
	v_xor_b32_e32 v70, 2, v69
	v_lshl_or_b32 v69, v69, 1, 0x80
	s_delay_alu instid0(VALU_DEP_3) | instskip(NEXT) | instid1(VALU_DEP_3)
	v_lshl_or_b32 v68, v68, 1, 0x80
	v_add_nc_u32_e32 v71, 3, v70
	s_waitcnt vmcnt(7)
	v_lshrrev_b32_e32 v72, 16, v33
	v_lshrrev_b32_e32 v73, 16, v34
	;; [unrolled: 1-line block ×4, first 2 shown]
	s_waitcnt vmcnt(6)
	v_lshrrev_b32_e32 v77, 16, v38
	v_lshrrev_b32_e32 v78, 16, v39
	;; [unrolled: 1-line block ×3, first 2 shown]
	v_and_b32_e32 v34, 0xffff, v34
	s_waitcnt vmcnt(5)
	v_lshrrev_b32_e32 v80, 16, v44
	v_lshrrev_b32_e32 v81, 16, v45
	v_and_b32_e32 v45, 0xffff, v45
	v_and_b32_e32 v36, 0xffff, v36
	v_lshrrev_b32_e32 v82, 16, v46
	v_lshrrev_b32_e32 v83, 16, v47
	v_and_b32_e32 v47, 0xffff, v47
	s_waitcnt vmcnt(4)
	v_lshrrev_b32_e32 v84, 16, v48
	v_lshrrev_b32_e32 v85, 16, v49
	v_lshrrev_b32_e32 v86, 16, v50
	v_lshrrev_b32_e32 v87, 16, v51
	s_waitcnt vmcnt(3)
	v_lshrrev_b32_e32 v88, 16, v52
	v_lshrrev_b32_e32 v89, 16, v53
	;; [unrolled: 1-line block ×3, first 2 shown]
	ds_bpermute_b32 v146, v41, v77
	ds_bpermute_b32 v77, v43, v78
	;; [unrolled: 1-line block ×6, first 2 shown]
	v_lshrrev_b32_e32 v91, 16, v55
	s_waitcnt vmcnt(2)
	v_lshrrev_b32_e32 v92, 16, v56
	v_lshrrev_b32_e32 v93, 16, v57
	v_and_b32_e32 v57, 0xffff, v57
	v_and_b32_e32 v40, 0xffff, v40
	v_lshrrev_b32_e32 v94, 16, v58
	v_lshrrev_b32_e32 v95, 16, v59
	s_waitcnt vmcnt(1)
	v_lshrrev_b32_e32 v96, 16, v60
	v_lshrrev_b32_e32 v147, 16, v61
	;; [unrolled: 1-line block ×3, first 2 shown]
	v_and_b32_e32 v61, 0xffff, v61
	ds_bpermute_b32 v72, v43, v72
	ds_bpermute_b32 v34, v42, v34
	ds_bpermute_b32 v74, v43, v74
	ds_bpermute_b32 v36, v42, v36
	ds_bpermute_b32 v81, v43, v82
	ds_bpermute_b32 v47, v42, v47
	ds_bpermute_b32 v82, v41, v83
	ds_bpermute_b32 v83, v43, v84
	ds_bpermute_b32 v84, v41, v85
	ds_bpermute_b32 v85, v43, v86
	ds_bpermute_b32 v86, v41, v87
	ds_bpermute_b32 v87, v43, v88
	ds_bpermute_b32 v88, v41, v89
	ds_bpermute_b32 v89, v43, v90
	v_and_b32_e32 v49, 0xffff, v49
	v_and_b32_e32 v53, 0xffff, v53
	;; [unrolled: 1-line block ×3, first 2 shown]
	v_lshrrev_b32_e32 v149, 16, v63
	s_waitcnt vmcnt(0)
	v_lshrrev_b32_e32 v151, 16, v65
	v_lshrrev_b32_e32 v153, 16, v67
	;; [unrolled: 1-line block ×3, first 2 shown]
	ds_bpermute_b32 v73, v41, v73
	v_lshrrev_b32_e32 v76, 16, v37
	v_and_b32_e32 v51, 0xffff, v51
	v_and_b32_e32 v63, 0xffff, v63
	;; [unrolled: 1-line block ×3, first 2 shown]
	ds_bpermute_b32 v90, v41, v91
	ds_bpermute_b32 v91, v43, v92
	;; [unrolled: 1-line block ×3, first 2 shown]
	v_and_b32_e32 v38, 0xffff, v38
	v_and_b32_e32 v59, 0xffff, v59
	v_lshrrev_b32_e32 v152, 16, v66
	ds_bpermute_b32 v40, v42, v40
	ds_bpermute_b32 v92, v41, v93
	;; [unrolled: 1-line block ×8, first 2 shown]
	v_and_b32_e32 v67, 0xffff, v67
	ds_bpermute_b32 v75, v41, v75
	ds_bpermute_b32 v49, v42, v49
	;; [unrolled: 1-line block ×12, first 2 shown]
	v_and_b32_e32 v48, 0xffff, v48
	ds_bpermute_b32 v38, v42, v38
	ds_bpermute_b32 v59, v42, v59
	;; [unrolled: 1-line block ×4, first 2 shown]
	v_and_b32_e32 v50, 0xffff, v50
	v_and_b32_e32 v44, 0xffff, v44
	;; [unrolled: 1-line block ×6, first 2 shown]
	v_mov_b32_dpp v155, v48 quad_perm:[3,0,1,2] row_mask:0xf bank_mask:0xf
	s_waitcnt lgkmcnt(44)
	v_and_b32_e32 v48, 0xffff, v79
	s_waitcnt lgkmcnt(43)
	v_and_b32_e32 v45, 0xffff, v45
	v_mov_b32_dpp v156, v50 quad_perm:[3,0,1,2] row_mask:0xf bank_mask:0xf
	s_waitcnt lgkmcnt(42)
	v_and_b32_e32 v50, 0xffff, v80
	v_and_b32_e32 v66, 0xffff, v66
	;; [unrolled: 1-line block ×6, first 2 shown]
	v_mov_b32_dpp v152, v44 quad_perm:[3,0,1,2] row_mask:0xf bank_mask:0xf
	v_mov_b32_dpp v153, v46 quad_perm:[3,0,1,2] row_mask:0xf bank_mask:0xf
	;; [unrolled: 1-line block ×5, first 2 shown]
	s_waitcnt lgkmcnt(40)
	v_perm_b32 v44, v34, v72, 0x5040100
	s_waitcnt lgkmcnt(38)
	v_perm_b32 v46, v36, v74, 0x5040100
	s_waitcnt lgkmcnt(37)
	v_and_b32_e32 v52, 0xffff, v81
	s_waitcnt lgkmcnt(36)
	v_and_b32_e32 v47, 0xffff, v47
	;; [unrolled: 2-line block ×5, first 2 shown]
	s_clause 0x2
	scratch_store_b16 v69, v33, off
	scratch_store_b16 v69, v72, off offset:8
	scratch_store_b16 v69, v34, off offset:16
	s_waitcnt lgkmcnt(27)
	s_clause 0x3
	scratch_store_b16 v69, v73, off offset:24
	scratch_store_b16 v69, v35, off offset:32
	;; [unrolled: 1-line block ×4, first 2 shown]
	s_waitcnt lgkmcnt(15)
	s_clause 0x1
	scratch_store_b16 v69, v75, off offset:56
	scratch_store_b16 v69, v37, off offset:64
	s_waitcnt lgkmcnt(7)
	scratch_store_b16 v69, v76, off offset:72
	s_waitcnt lgkmcnt(3)
	s_clause 0x5
	scratch_store_b16 v69, v38, off offset:80
	scratch_store_b16 v69, v146, off offset:88
	;; [unrolled: 1-line block ×6, first 2 shown]
	s_clause 0x3
	scratch_store_b16 off, v73, off offset:6
	scratch_store_b32 off, v44, off offset:2
	scratch_store_b16 off, v75, off offset:14
	scratch_store_b32 off, v46, off offset:10
	v_mov_b32_dpp v33, v48 quad_perm:[3,0,1,2] row_mask:0xf bank_mask:0xf
	v_mov_b32_dpp v34, v45 quad_perm:[3,0,1,2] row_mask:0xf bank_mask:0xf
	v_mov_b32_dpp v69, v50 quad_perm:[3,0,1,2] row_mask:0xf bank_mask:0xf
	v_mov_b32_dpp v164, v66 quad_perm:[1,2,3,0] row_mask:0xf bank_mask:0xf
	v_and_b32_e32 v66, 0xffff, v88
	v_and_b32_e32 v79, 0xffff, v90
	;; [unrolled: 1-line block ×4, first 2 shown]
	v_mov_b32_dpp v159, v56 quad_perm:[2,3,0,1] row_mask:0xf bank_mask:0xf
	v_mov_b32_dpp v161, v60 quad_perm:[1,2,3,0] row_mask:0xf bank_mask:0xf
	v_mov_b32_dpp v162, v62 quad_perm:[1,2,3,0] row_mask:0xf bank_mask:0xf
	v_mov_b32_dpp v163, v64 quad_perm:[1,2,3,0] row_mask:0xf bank_mask:0xf
	v_perm_b32 v65, v40, v77, 0x5040100
	v_and_b32_e32 v56, 0xffff, v83
	v_and_b32_e32 v60, 0xffff, v85
	v_and_b32_e32 v62, 0xffff, v86
	v_and_b32_e32 v64, 0xffff, v87
	v_and_b32_e32 v83, 0xffff, v94
	v_and_b32_e32 v84, 0xffff, v95
	v_and_b32_e32 v61, 0xffff, v61
	v_and_b32_e32 v85, 0xffff, v96
	v_and_b32_e32 v86, 0xffff, v148
	v_mov_b32_dpp v72, v52 quad_perm:[3,0,1,2] row_mask:0xf bank_mask:0xf
	v_mov_b32_dpp v73, v47 quad_perm:[3,0,1,2] row_mask:0xf bank_mask:0xf
	;; [unrolled: 1-line block ×5, first 2 shown]
	v_perm_b32 v67, v34, v33, 0x5040100
	s_clause 0x7
	scratch_store_b16 v68, v152, off
	scratch_store_b16 v68, v33, off offset:8
	scratch_store_b16 v68, v34, off offset:16
	;; [unrolled: 1-line block ×7, first 2 shown]
	v_and_b32_e32 v33, 3, v71
	v_lshlrev_b32_e32 v58, 1, v71
	v_and_b32_e32 v49, 0xffff, v49
	v_and_b32_e32 v53, 0xffff, v53
	;; [unrolled: 1-line block ×11, first 2 shown]
	v_mov_b32_dpp v96, v66 quad_perm:[2,3,0,1] row_mask:0xf bank_mask:0xf
	v_mov_b32_dpp v150, v79 quad_perm:[2,3,0,1] row_mask:0xf bank_mask:0xf
	;; [unrolled: 1-line block ×4, first 2 shown]
	v_lshl_or_b32 v57, v70, 1, 0x80
	v_and_b32_e32 v82, 0xffff, v93
	s_waitcnt lgkmcnt(2)
	v_and_b32_e32 v59, 0xffff, v59
	s_waitcnt lgkmcnt(1)
	v_and_b32_e32 v43, 0xffff, v43
	v_mov_b32_dpp v75, v56 quad_perm:[3,0,1,2] row_mask:0xf bank_mask:0xf
	v_mov_b32_dpp v94, v64 quad_perm:[2,3,0,1] row_mask:0xf bank_mask:0xf
	;; [unrolled: 1-line block ×6, first 2 shown]
	v_lshl_or_b32 v61, v33, 1, 0x80
	v_or3_b32 v33, 0x80, v58, 8
	v_or_b32_e32 v37, 24, v58
	v_perm_b32 v147, v38, v76, 0x5040100
	s_waitcnt lgkmcnt(0)
	v_and_b32_e32 v42, 0xffff, v42
	v_mov_b32_dpp v76, v49 quad_perm:[3,0,1,2] row_mask:0xf bank_mask:0xf
	v_mov_b32_dpp v95, v53 quad_perm:[2,3,0,1] row_mask:0xf bank_mask:0xf
	;; [unrolled: 1-line block ×5, first 2 shown]
	v_or_b32_e32 v41, 40, v58
	v_mov_b32_dpp v166, v87 quad_perm:[1,2,3,0] row_mask:0xf bank_mask:0xf
	v_or_b32_e32 v45, 56, v58
	v_mov_b32_dpp v87, v88 quad_perm:[1,2,3,0] row_mask:0xf bank_mask:0xf
	;; [unrolled: 2-line block ×3, first 2 shown]
	v_mov_b32_dpp v92, v51 quad_perm:[3,0,1,2] row_mask:0xf bank_mask:0xf
	v_mov_b32_dpp v93, v62 quad_perm:[3,0,1,2] row_mask:0xf bank_mask:0xf
	;; [unrolled: 1-line block ×6, first 2 shown]
	s_clause 0xd
	scratch_store_b16 v68, v155, off offset:64
	scratch_store_b16 v68, v75, off offset:72
	;; [unrolled: 1-line block ×8, first 2 shown]
	scratch_store_b16 v57, v157, off
	scratch_store_b16 v57, v94, off offset:8
	scratch_store_b16 v57, v95, off offset:16
	scratch_store_b16 v61, v161, off
	scratch_store_b16 v57, v96, off offset:24
	scratch_store_b16 v33, v83, off
	v_or_b32_e32 v53, 0x58, v58
	v_mov_b32_dpp v82, v82 quad_perm:[2,3,0,1] row_mask:0xf bank_mask:0xf
	v_mov_b32_dpp v151, v59 quad_perm:[2,3,0,1] row_mask:0xf bank_mask:0xf
	;; [unrolled: 1-line block ×3, first 2 shown]
	scratch_load_b128 v[33:36], off, off offset:128
	s_clause 0x3
	scratch_store_b16 v57, v158, off offset:32
	scratch_store_b16 v57, v148, off offset:40
	;; [unrolled: 1-line block ×4, first 2 shown]
	v_or_b32_e32 v59, 0x68, v58
	v_mov_b32_dpp v167, v42 quad_perm:[1,2,3,0] row_mask:0xf bank_mask:0xf
	scratch_load_b128 v[37:40], off, off offset:144
	s_clause 0x3
	scratch_store_b16 v57, v149, off offset:48
	scratch_store_b16 v57, v150, off offset:56
	;; [unrolled: 1-line block ×4, first 2 shown]
	scratch_load_b128 v[41:44], off, off offset:160
	s_clause 0x3
	scratch_store_b16 v57, v159, off offset:64
	scratch_store_b16 v57, v79, off offset:72
	;; [unrolled: 1-line block ×4, first 2 shown]
	v_or_b32_e32 v62, 0x78, v58
	scratch_load_b128 v[45:48], off, off offset:176
	s_clause 0x3
	scratch_store_b16 v57, v80, off offset:80
	scratch_store_b16 v57, v81, off offset:88
	scratch_store_b16 v61, v163, off offset:64
	scratch_store_b16 v49, v87, off offset:128
	scratch_load_b128 v[49:52], off, off offset:192
	s_clause 0x3
	scratch_store_b16 v57, v160, off offset:96
	scratch_store_b16 v57, v82, off offset:104
	scratch_store_b16 v61, v88, off offset:80
	scratch_store_b16 v53, v89, off offset:128
	scratch_load_b128 v[53:56], off, off offset:208
	s_clause 0x3
	scratch_store_b16 v57, v151, off offset:112
	scratch_store_b16 v57, v154, off offset:120
	scratch_store_b16 v59, v90, off offset:128
	scratch_store_b16 v61, v164, off offset:96
	scratch_load_b128 v[57:60], off, off offset:224
	s_clause 0x1
	scratch_store_b16 v61, v167, off offset:112
	scratch_store_b16 v62, v168, off offset:128
	scratch_load_b128 v[61:64], off, off offset:240
	v_perm_b32 v66, v152, v78, 0x5040100
	v_perm_b32 v68, v153, v69, 0x5040100
	;; [unrolled: 1-line block ×23, first 2 shown]
	s_clause 0x9
	scratch_store_b128 off, v[65:68], off offset:26
	scratch_store_b128 off, v[69:72], off offset:42
	;; [unrolled: 1-line block ×6, first 2 shown]
	scratch_store_b16 off, v146, off offset:22
	scratch_store_b32 off, v147, off offset:18
	scratch_store_b16 off, v168, off offset:126
	scratch_store_b32 off, v148, off offset:122
	s_waitcnt vmcnt(7)
	v_lshrrev_b32_e32 v149, 16, v34
	v_lshrrev_b32_e32 v150, 16, v36
	v_and_b32_e32 v34, 0xffff, v34
	v_and_b32_e32 v36, 0xffff, v36
	v_lshrrev_b32_e32 v65, 16, v33
	v_lshrrev_b32_e32 v66, 16, v35
	s_waitcnt vmcnt(6)
	v_lshrrev_b32_e32 v67, 16, v37
	v_lshrrev_b32_e32 v151, 16, v38
	v_lshrrev_b32_e32 v68, 16, v39
	v_lshrrev_b32_e32 v152, 16, v40
	v_and_b32_e32 v38, 0xffff, v38
	v_and_b32_e32 v40, 0xffff, v40
	s_waitcnt vmcnt(5)
	v_lshrrev_b32_e32 v69, 16, v41
	v_lshrrev_b32_e32 v153, 16, v42
	v_lshrrev_b32_e32 v70, 16, v43
	v_lshrrev_b32_e32 v154, 16, v44
	v_and_b32_e32 v42, 0xffff, v42
	v_and_b32_e32 v44, 0xffff, v44
	;; [unrolled: 7-line block ×6, first 2 shown]
	s_waitcnt vmcnt(0)
	v_lshrrev_b32_e32 v165, 16, v61
	v_lshrrev_b32_e32 v166, 16, v63
	v_and_b32_e32 v167, 0xffff, v62
	v_and_b32_e32 v169, 0xffff, v64
	v_mov_b32_dpp v86, v34 quad_perm:[2,3,0,1] row_mask:0xf bank_mask:0xf
	v_mov_b32_dpp v96, v36 quad_perm:[2,3,0,1] row_mask:0xf bank_mask:0xf
	v_lshrrev_b32_e32 v34, 16, v62
	v_lshrrev_b32_e32 v36, 16, v64
	v_mov_b32_dpp v85, v65 quad_perm:[1,2,3,0] row_mask:0xf bank_mask:0xf
	v_mov_b32_dpp v95, v66 quad_perm:[1,2,3,0] row_mask:0xf bank_mask:0xf
	;; [unrolled: 1-line block ×46, first 2 shown]
	s_and_not1_b32 vcc_lo, exec_lo, s0
	s_cbranch_vccz .LBB0_3
	s_branch .LBB0_4
.LBB0_2:
                                        ; implicit-def: $vgpr36
                                        ; implicit-def: $vgpr63
                                        ; implicit-def: $vgpr34
                                        ; implicit-def: $vgpr40
                                        ; implicit-def: $vgpr59
                                        ; implicit-def: $vgpr38
                                        ; implicit-def: $vgpr44
                                        ; implicit-def: $vgpr55
                                        ; implicit-def: $vgpr42
                                        ; implicit-def: $vgpr48
                                        ; implicit-def: $vgpr51
                                        ; implicit-def: $vgpr46
                                        ; implicit-def: $vgpr52
                                        ; implicit-def: $vgpr47
                                        ; implicit-def: $vgpr50
                                        ; implicit-def: $vgpr56
                                        ; implicit-def: $vgpr43
                                        ; implicit-def: $vgpr54
                                        ; implicit-def: $vgpr60
                                        ; implicit-def: $vgpr39
                                        ; implicit-def: $vgpr58
                                        ; implicit-def: $vgpr64
                                        ; implicit-def: $vgpr35
                                        ; implicit-def: $vgpr62
                                        ; implicit-def: $vgpr75_vgpr76
                                        ; implicit-def: $vgpr65_vgpr66
                                        ; implicit-def: $vgpr79_vgpr80
                                        ; implicit-def: $vgpr67_vgpr68
                                        ; implicit-def: $vgpr83_vgpr84
                                        ; implicit-def: $vgpr69_vgpr70
                                        ; implicit-def: $vgpr87_vgpr88
                                        ; implicit-def: $vgpr71_vgpr72
                                        ; implicit-def: $vgpr89_vgpr90
                                        ; implicit-def: $vgpr73_vgpr74
                                        ; implicit-def: $vgpr91_vgpr92
                                        ; implicit-def: $vgpr77_vgpr78
                                        ; implicit-def: $vgpr93_vgpr94
                                        ; implicit-def: $vgpr81_vgpr82
                                        ; implicit-def: $vgpr95_vgpr96
                                        ; implicit-def: $vgpr85_vgpr86
.LBB0_3:
	v_and_b32_e32 v33, 16, v98
	v_add_nc_u32_e32 v34, 12, v98
	s_waitcnt vmcnt(1)
	scratch_store_b128 off, v[5:8], off
	s_waitcnt vmcnt(0)
	s_clause 0x6
	scratch_store_b128 off, v[1:4], off offset:16
	scratch_store_b128 off, v[29:32], off offset:32
	;; [unrolled: 1-line block ×7, first 2 shown]
	v_add_nc_u32_e32 v10, 4, v98
	v_bfe_u32 v53, v98, 2, 2
	v_and_or_b32 v34, v34, 15, v33
	v_lshlrev_b32_e32 v9, 2, v98
	s_delay_alu instid0(VALU_DEP_4) | instskip(NEXT) | instid1(VALU_DEP_4)
	v_and_or_b32 v10, v10, 15, v33
	v_lshl_or_b32 v58, v53, 1, 0
	s_delay_alu instid0(VALU_DEP_4) | instskip(NEXT) | instid1(VALU_DEP_4)
	v_lshlrev_b32_e32 v25, 2, v34
	v_xor_b32_e32 v9, 32, v9
	s_clause 0x7
	scratch_store_b16 v58, v5, off
	scratch_store_d16_hi_b16 v58, v5, off offset:8
	scratch_store_b16 v58, v6, off offset:16
	scratch_store_d16_hi_b16 v58, v6, off offset:24
	scratch_store_b16 v58, v7, off offset:32
	;; [unrolled: 2-line block ×3, first 2 shown]
	scratch_store_d16_hi_b16 v58, v8, off offset:56
	v_lshlrev_b32_e32 v10, 2, v10
	ds_bpermute_b32 v11, v25, v145
	ds_bpermute_b32 v13, v25, v144
	ds_bpermute_b32 v15, v25, v143
	ds_bpermute_b32 v17, v25, v142
	ds_bpermute_b32 v61, v10, v0
	v_add_nc_u32_e32 v0, 3, v53
	ds_bpermute_b32 v19, v25, v141
	ds_bpermute_b32 v12, v25, v135
	;; [unrolled: 1-line block ×4, first 2 shown]
	v_and_b32_e32 v5, 3, v0
	ds_bpermute_b32 v23, v25, v139
	ds_bpermute_b32 v16, v25, v133
	;; [unrolled: 1-line block ×12, first 2 shown]
	s_clause 0x7
	scratch_store_b16 v58, v1, off offset:64
	scratch_store_d16_hi_b16 v58, v1, off offset:72
	scratch_store_b16 v58, v2, off offset:80
	scratch_store_d16_hi_b16 v58, v2, off offset:88
	;; [unrolled: 2-line block ×4, first 2 shown]
	v_lshl_or_b32 v1, v5, 1, 0
	v_xor_b32_e32 v5, 2, v53
	ds_bpermute_b32 v24, v25, v122
	ds_bpermute_b32 v30, v9, v136
	;; [unrolled: 1-line block ×22, first 2 shown]
	v_lshlrev_b32_e32 v0, 1, v0
	v_add_nc_u32_e32 v58, 3, v5
	ds_bpermute_b32 v43, v9, v106
	ds_bpermute_b32 v55, v10, v114
	;; [unrolled: 1-line block ×5, first 2 shown]
	v_or3_b32 v2, 0, v0, 8
	s_waitcnt lgkmcnt(47)
	scratch_store_b16 v1, v11, off
	s_waitcnt lgkmcnt(46)
	scratch_store_b16 v1, v13, off offset:16
	s_waitcnt lgkmcnt(45)
	scratch_store_b16 v1, v15, off offset:32
	;; [unrolled: 2-line block ×7, first 2 shown]
	v_and_b32_e32 v1, 3, v58
	v_lshlrev_b32_e32 v58, 1, v58
	v_or_b32_e32 v3, 24, v0
	v_or_b32_e32 v4, 40, v0
	;; [unrolled: 1-line block ×7, first 2 shown]
	v_lshl_or_b32 v23, v5, 1, 0
	s_clause 0x2
	scratch_store_b16 v2, v12, off
	scratch_store_b16 v3, v14, off
	;; [unrolled: 1-line block ×3, first 2 shown]
	s_waitcnt lgkmcnt(35)
	scratch_store_b16 v6, v18, off
	s_waitcnt lgkmcnt(34)
	scratch_store_b16 v7, v20, off
	;; [unrolled: 2-line block ×5, first 2 shown]
	v_or3_b32 v0, 0, v58, 8
	v_or_b32_e32 v4, 24, v58
	v_or_b32_e32 v11, 40, v58
	v_lshl_or_b32 v8, v1, 1, 0
	v_or_b32_e32 v15, 56, v58
	v_or_b32_e32 v19, 0x48, v58
	s_clause 0x2
	scratch_store_b16 v23, v28, off
	scratch_store_b16 v23, v29, off offset:8
	scratch_store_b16 v23, v30, off offset:16
	s_waitcnt lgkmcnt(18)
	s_clause 0x2
	scratch_store_b16 v8, v44, off
	scratch_store_b16 v23, v31, off offset:24
	scratch_store_b16 v0, v45, off
	v_or_b32_e32 v24, 0x58, v58
	scratch_load_b128 v[0:3], off, off
	s_clause 0x1
	scratch_store_b16 v23, v32, off offset:32
	scratch_store_b16 v23, v34, off offset:40
	s_waitcnt lgkmcnt(17)
	s_clause 0x1
	scratch_store_b16 v8, v46, off offset:16
	scratch_store_b16 v4, v47, off
	scratch_load_b128 v[4:7], off, off offset:16
	s_clause 0x1
	scratch_store_b16 v23, v35, off offset:48
	scratch_store_b16 v23, v36, off offset:56
	s_waitcnt lgkmcnt(13)
	s_clause 0x1
	scratch_store_b16 v8, v48, off offset:32
	scratch_store_b16 v11, v49, off
	scratch_load_b128 v[11:14], off, off offset:32
	;; [unrolled: 8-line block ×3, first 2 shown]
	s_clause 0x1
	scratch_store_b16 v23, v38, off offset:80
	scratch_store_b16 v23, v39, off offset:88
	s_waitcnt lgkmcnt(5)
	s_clause 0x1
	scratch_store_b16 v8, v52, off offset:64
	scratch_store_b16 v19, v54, off
	v_or_b32_e32 v30, 0x68, v58
	scratch_load_b128 v[19:22], off, off offset:64
	s_clause 0x1
	scratch_store_b16 v23, v40, off offset:96
	scratch_store_b16 v23, v41, off offset:104
	s_waitcnt lgkmcnt(3)
	s_clause 0x1
	scratch_store_b16 v8, v55, off offset:80
	scratch_store_b16 v24, v56, off
	scratch_load_b128 v[26:29], off, off offset:80
	s_clause 0x1
	scratch_store_b16 v23, v42, off offset:112
	scratch_store_b16 v23, v43, off offset:120
	v_or_b32_e32 v23, 0x78, v58
	s_waitcnt lgkmcnt(2)
	scratch_store_b16 v30, v59, off
	s_waitcnt lgkmcnt(1)
	scratch_store_b16 v8, v57, off offset:96
	scratch_load_b128 v[30:33], off, off offset:96
	s_waitcnt lgkmcnt(0)
	s_clause 0x1
	scratch_store_b16 v8, v60, off offset:112
	scratch_store_b16 v23, v61, off
	scratch_load_b128 v[34:37], off, off offset:112
	v_and_b32_e32 v8, 3, v98
	v_add_nc_u32_e32 v23, -1, v98
	s_delay_alu instid0(VALU_DEP_2) | instskip(NEXT) | instid1(VALU_DEP_2)
	v_xor_b32_e32 v24, 2, v8
	v_and_b32_e32 v23, 3, v23
	v_lshl_or_b32 v8, v8, 1, 0x80
	s_delay_alu instid0(VALU_DEP_3) | instskip(NEXT) | instid1(VALU_DEP_3)
	v_add_nc_u32_e32 v38, 3, v24
	v_lshl_or_b32 v23, v23, 1, 0x80
	v_lshl_or_b32 v24, v24, 1, 0x80
	s_delay_alu instid0(VALU_DEP_3)
	v_and_b32_e32 v39, 3, v38
	v_lshlrev_b32_e32 v57, 1, v38
	s_waitcnt vmcnt(7)
	v_lshrrev_b32_e32 v38, 16, v0
	v_lshrrev_b32_e32 v40, 16, v1
	;; [unrolled: 1-line block ×3, first 2 shown]
	s_waitcnt vmcnt(6)
	v_lshrrev_b32_e32 v45, 16, v6
	v_lshrrev_b32_e32 v41, 16, v2
	v_and_b32_e32 v1, 0xffff, v1
	s_waitcnt vmcnt(5)
	v_lshrrev_b32_e32 v47, 16, v11
	v_lshrrev_b32_e32 v48, 16, v12
	;; [unrolled: 1-line block ×3, first 2 shown]
	s_waitcnt vmcnt(4)
	v_lshrrev_b32_e32 v53, 16, v17
	v_and_b32_e32 v3, 0xffff, v3
	v_lshrrev_b32_e32 v43, 16, v4
	v_lshrrev_b32_e32 v44, 16, v5
	s_waitcnt vmcnt(3)
	v_lshrrev_b32_e32 v56, 16, v20
	v_lshrrev_b32_e32 v46, 16, v7
	v_and_b32_e32 v5, 0xffff, v5
	v_and_b32_e32 v7, 0xffff, v7
	v_lshrrev_b32_e32 v49, 16, v13
	v_and_b32_e32 v12, 0xffff, v12
	v_and_b32_e32 v14, 0xffff, v14
	v_lshrrev_b32_e32 v51, 16, v15
	v_lshrrev_b32_e32 v52, 16, v16
	v_lshrrev_b32_e32 v54, 16, v18
	v_and_b32_e32 v16, 0xffff, v16
	v_and_b32_e32 v18, 0xffff, v18
	v_lshrrev_b32_e32 v55, 16, v19
	v_lshrrev_b32_e32 v58, 16, v21
	v_lshrrev_b32_e32 v59, 16, v22
	v_and_b32_e32 v20, 0xffff, v20
	v_and_b32_e32 v22, 0xffff, v22
	s_waitcnt vmcnt(2)
	v_lshrrev_b32_e32 v61, 16, v27
	v_lshrrev_b32_e32 v63, 16, v29
	v_and_b32_e32 v27, 0xffff, v27
	v_and_b32_e32 v29, 0xffff, v29
	s_waitcnt vmcnt(1)
	v_lshrrev_b32_e32 v64, 16, v30
	v_lshrrev_b32_e32 v65, 16, v31
	;; [unrolled: 1-line block ×3, first 2 shown]
	v_and_b32_e32 v31, 0xffff, v31
	v_and_b32_e32 v33, 0xffff, v33
	s_waitcnt vmcnt(0)
	v_lshrrev_b32_e32 v69, 16, v35
	v_lshrrev_b32_e32 v71, 16, v37
	v_and_b32_e32 v35, 0xffff, v35
	v_and_b32_e32 v37, 0xffff, v37
	v_lshrrev_b32_e32 v60, 16, v26
	v_lshrrev_b32_e32 v62, 16, v28
	v_lshrrev_b32_e32 v66, 16, v32
	v_lshrrev_b32_e32 v68, 16, v34
	v_lshrrev_b32_e32 v70, 16, v36
	ds_bpermute_b32 v72, v10, v38
	ds_bpermute_b32 v73, v25, v40
	ds_bpermute_b32 v75, v25, v42
	ds_bpermute_b32 v78, v10, v45
	ds_bpermute_b32 v38, v10, v47
	ds_bpermute_b32 v40, v25, v48
	ds_bpermute_b32 v42, v25, v50
	ds_bpermute_b32 v45, v10, v53
	ds_bpermute_b32 v48, v25, v56
	ds_bpermute_b32 v1, v9, v1
	ds_bpermute_b32 v74, v10, v41
	ds_bpermute_b32 v3, v9, v3
	ds_bpermute_b32 v76, v10, v43
	ds_bpermute_b32 v5, v9, v5
	ds_bpermute_b32 v77, v25, v44
	ds_bpermute_b32 v7, v9, v7
	ds_bpermute_b32 v79, v25, v46
	ds_bpermute_b32 v12, v9, v12
	ds_bpermute_b32 v41, v10, v49
	ds_bpermute_b32 v14, v9, v14
	ds_bpermute_b32 v43, v10, v51
	ds_bpermute_b32 v16, v9, v16
	ds_bpermute_b32 v44, v25, v52
	ds_bpermute_b32 v18, v9, v18
	ds_bpermute_b32 v46, v25, v54
	ds_bpermute_b32 v47, v10, v55
	ds_bpermute_b32 v20, v9, v20
	ds_bpermute_b32 v49, v10, v58
	ds_bpermute_b32 v22, v9, v22
	ds_bpermute_b32 v27, v9, v27
	ds_bpermute_b32 v52, v25, v61
	ds_bpermute_b32 v29, v9, v29
	ds_bpermute_b32 v55, v10, v64
	ds_bpermute_b32 v31, v9, v31
	ds_bpermute_b32 v33, v9, v33
	ds_bpermute_b32 v35, v9, v35
	ds_bpermute_b32 v9, v9, v37
	ds_bpermute_b32 v50, v25, v59
	ds_bpermute_b32 v51, v10, v60
	ds_bpermute_b32 v53, v10, v62
	ds_bpermute_b32 v56, v25, v65
	ds_bpermute_b32 v58, v10, v66
	ds_bpermute_b32 v60, v10, v68
	ds_bpermute_b32 v10, v10, v70
	ds_bpermute_b32 v54, v25, v63
	ds_bpermute_b32 v59, v25, v67
	ds_bpermute_b32 v61, v25, v69
	v_and_b32_e32 v34, 0xffff, v34
	v_and_b32_e32 v36, 0xffff, v36
	ds_bpermute_b32 v25, v25, v71
	v_and_b32_e32 v11, 0xffff, v11
	v_and_b32_e32 v19, 0xffff, v19
	v_mov_b32_dpp v65, v34 quad_perm:[1,2,3,0] row_mask:0xf bank_mask:0xf
	s_waitcnt lgkmcnt(43)
	v_and_b32_e32 v34, 0xffff, v38
	s_waitcnt lgkmcnt(41)
	v_and_b32_e32 v38, 0xffff, v42
	;; [unrolled: 2-line block ×4, first 2 shown]
	v_mov_b32_dpp v66, v36 quad_perm:[1,2,3,0] row_mask:0xf bank_mask:0xf
	v_and_b32_e32 v36, 0xffff, v40
	s_waitcnt lgkmcnt(29)
	v_and_b32_e32 v37, 0xffff, v41
	s_waitcnt lgkmcnt(27)
	;; [unrolled: 2-line block ×9, first 2 shown]
	v_and_b32_e32 v9, 0xffff, v9
	v_and_b32_e32 v21, 0xffff, v21
	;; [unrolled: 1-line block ×4, first 2 shown]
	s_waitcnt lgkmcnt(10)
	v_and_b32_e32 v47, 0xffff, v50
	s_waitcnt lgkmcnt(8)
	v_and_b32_e32 v50, 0xffff, v53
	s_waitcnt lgkmcnt(7)
	v_and_b32_e32 v53, 0xffff, v56
	s_waitcnt lgkmcnt(4)
	v_and_b32_e32 v10, 0xffff, v10
	v_and_b32_e32 v30, 0xffff, v30
	v_and_b32_e32 v13, 0xffff, v13
	;; [unrolled: 1-line block ×5, first 2 shown]
	v_mov_b32_dpp v11, v11 quad_perm:[3,0,1,2] row_mask:0xf bank_mask:0xf
	v_mov_b32_dpp v19, v19 quad_perm:[2,3,0,1] row_mask:0xf bank_mask:0xf
	v_and_b32_e32 v14, 0xffff, v14
	v_and_b32_e32 v16, 0xffff, v16
	;; [unrolled: 1-line block ×5, first 2 shown]
	s_waitcnt lgkmcnt(3)
	v_and_b32_e32 v51, 0xffff, v54
	v_and_b32_e32 v54, 0xffff, v58
	v_mov_b32_dpp v80, v45 quad_perm:[2,3,0,1] row_mask:0xf bank_mask:0xf
	s_clause 0xf
	scratch_store_b16 v8, v0, off
	scratch_store_b16 v8, v72, off offset:8
	scratch_store_b16 v8, v1, off offset:16
	;; [unrolled: 1-line block ×15, first 2 shown]
	v_mov_b32_dpp v2, v34 quad_perm:[3,0,1,2] row_mask:0xf bank_mask:0xf
	v_mov_b32_dpp v71, v44 quad_perm:[2,3,0,1] row_mask:0xf bank_mask:0xf
	;; [unrolled: 1-line block ×4, first 2 shown]
	v_or3_b32 v9, 0x80, v57, 8
	v_and_b32_e32 v26, 0xffff, v26
	v_and_b32_e32 v32, 0xffff, v32
	v_mov_b32_dpp v21, v21 quad_perm:[2,3,0,1] row_mask:0xf bank_mask:0xf
	v_and_b32_e32 v33, 0xffff, v33
	s_waitcnt lgkmcnt(2)
	v_and_b32_e32 v55, 0xffff, v59
	v_and_b32_e32 v35, 0xffff, v35
	v_mov_b32_dpp v4, v12 quad_perm:[3,0,1,2] row_mask:0xf bank_mask:0xf
	v_mov_b32_dpp v20, v20 quad_perm:[2,3,0,1] row_mask:0xf bank_mask:0xf
	;; [unrolled: 1-line block ×4, first 2 shown]
	v_or_b32_e32 v10, 24, v57
	v_mov_b32_dpp v30, v30 quad_perm:[1,2,3,0] row_mask:0xf bank_mask:0xf
	v_mov_b32_dpp v6, v36 quad_perm:[3,0,1,2] row_mask:0xf bank_mask:0xf
	;; [unrolled: 1-line block ×3, first 2 shown]
	v_lshl_or_b32 v0, v39, 1, 0x80
	v_mov_b32_dpp v13, v13 quad_perm:[3,0,1,2] row_mask:0xf bank_mask:0xf
	v_mov_b32_dpp v31, v31 quad_perm:[1,2,3,0] row_mask:0xf bank_mask:0xf
	;; [unrolled: 1-line block ×4, first 2 shown]
	v_and_b32_e32 v27, 0xffff, v27
	v_and_b32_e32 v56, 0xffff, v60
	v_mov_b32_dpp v8, v37 quad_perm:[3,0,1,2] row_mask:0xf bank_mask:0xf
	v_mov_b32_dpp v12, v14 quad_perm:[3,0,1,2] row_mask:0xf bank_mask:0xf
	;; [unrolled: 1-line block ×11, first 2 shown]
	s_clause 0x15
	scratch_store_b16 v23, v11, off
	scratch_store_b16 v23, v2, off offset:8
	scratch_store_b16 v23, v4, off offset:16
	;; [unrolled: 1-line block ×15, first 2 shown]
	scratch_store_b16 v24, v19, off
	scratch_store_b16 v24, v71, off offset:8
	scratch_store_b16 v24, v20, off offset:16
	scratch_store_b16 v0, v30, off
	scratch_store_b16 v24, v80, off offset:24
	scratch_store_b16 v9, v87, off
	v_or_b32_e32 v9, 40, v57
	v_mov_b32_dpp v82, v47 quad_perm:[2,3,0,1] row_mask:0xf bank_mask:0xf
	v_and_b32_e32 v28, 0xffff, v28
	v_mov_b32_dpp v26, v26 quad_perm:[2,3,0,1] row_mask:0xf bank_mask:0xf
	v_mov_b32_dpp v32, v32 quad_perm:[1,2,3,0] row_mask:0xf bank_mask:0xf
	s_waitcnt lgkmcnt(1)
	v_and_b32_e32 v58, 0xffff, v61
	v_mov_b32_dpp v90, v33 quad_perm:[1,2,3,0] row_mask:0xf bank_mask:0xf
	v_mov_b32_dpp v91, v55 quad_perm:[1,2,3,0] row_mask:0xf bank_mask:0xf
	;; [unrolled: 1-line block ×3, first 2 shown]
	scratch_load_b128 v[33:36], off, off offset:128
	s_clause 0x3
	scratch_store_b16 v24, v21, off offset:32
	scratch_store_b16 v24, v81, off offset:40
	;; [unrolled: 1-line block ×4, first 2 shown]
	v_or_b32_e32 v10, 56, v57
	v_mov_b32_dpp v83, v48 quad_perm:[2,3,0,1] row_mask:0xf bank_mask:0xf
	v_and_b32_e32 v29, 0xffff, v29
	v_mov_b32_dpp v27, v27 quad_perm:[2,3,0,1] row_mask:0xf bank_mask:0xf
	v_mov_b32_dpp v92, v56 quad_perm:[1,2,3,0] row_mask:0xf bank_mask:0xf
	scratch_load_b128 v[37:40], off, off offset:144
	s_clause 0x3
	scratch_store_b16 v24, v22, off offset:48
	scratch_store_b16 v24, v82, off offset:56
	;; [unrolled: 1-line block ×4, first 2 shown]
	v_or_b32_e32 v9, 0x48, v57
	v_mov_b32_dpp v84, v49 quad_perm:[2,3,0,1] row_mask:0xf bank_mask:0xf
	v_mov_b32_dpp v28, v28 quad_perm:[2,3,0,1] row_mask:0xf bank_mask:0xf
	s_waitcnt lgkmcnt(0)
	v_and_b32_e32 v25, 0xffff, v25
	v_mov_b32_dpp v94, v58 quad_perm:[1,2,3,0] row_mask:0xf bank_mask:0xf
	scratch_load_b128 v[41:44], off, off offset:160
	s_clause 0x3
	scratch_store_b16 v24, v26, off offset:64
	scratch_store_b16 v24, v83, off offset:72
	;; [unrolled: 1-line block ×4, first 2 shown]
	v_or_b32_e32 v10, 0x58, v57
	v_mov_b32_dpp v85, v50 quad_perm:[2,3,0,1] row_mask:0xf bank_mask:0xf
	v_mov_b32_dpp v29, v29 quad_perm:[2,3,0,1] row_mask:0xf bank_mask:0xf
	scratch_load_b128 v[45:48], off, off offset:176
	s_clause 0x3
	scratch_store_b16 v24, v27, off offset:80
	scratch_store_b16 v24, v84, off offset:88
	;; [unrolled: 1-line block ×4, first 2 shown]
	v_or_b32_e32 v9, 0x68, v57
	v_mov_b32_dpp v86, v51 quad_perm:[2,3,0,1] row_mask:0xf bank_mask:0xf
	v_mov_b32_dpp v25, v25 quad_perm:[1,2,3,0] row_mask:0xf bank_mask:0xf
	scratch_load_b128 v[49:52], off, off offset:192
	s_clause 0x3
	scratch_store_b16 v24, v28, off offset:96
	scratch_store_b16 v24, v85, off offset:104
	;; [unrolled: 1-line block ×4, first 2 shown]
	v_or_b32_e32 v10, 0x78, v57
	scratch_load_b128 v[53:56], off, off offset:208
	s_clause 0x3
	scratch_store_b16 v24, v29, off offset:112
	scratch_store_b16 v24, v86, off offset:120
	;; [unrolled: 1-line block ×4, first 2 shown]
	scratch_load_b128 v[57:60], off, off offset:224
	s_clause 0x1
	scratch_store_b16 v0, v96, off offset:112
	scratch_store_b16 v10, v25, off offset:128
	scratch_load_b128 v[61:64], off, off offset:240
	v_perm_b32 v9, v1, v72, 0x5040100
	v_perm_b32 v3, v3, v74, 0x5040100
	v_perm_b32 v5, v5, v76, 0x5040100
	v_perm_b32 v0, v7, v78, 0x5040100
	v_perm_b32 v1, v11, v79, 0x5040100
	s_clause 0x5
	scratch_store_b16 off, v73, off offset:6
	scratch_store_b32 off, v9, off offset:2
	scratch_store_b16 off, v75, off offset:14
	scratch_store_b32 off, v3, off offset:10
	;; [unrolled: 2-line block ×3, first 2 shown]
	v_perm_b32 v2, v4, v2, 0x5040100
	v_perm_b32 v3, v13, v6, 0x5040100
	;; [unrolled: 1-line block ×20, first 2 shown]
	s_clause 0x3
	scratch_store_b128 off, v[0:3], off offset:26
	scratch_store_b128 off, v[4:7], off offset:42
	;; [unrolled: 1-line block ×4, first 2 shown]
	v_perm_b32 v22, v93, v92, 0x5040100
	v_perm_b32 v20, v90, v89, 0x5040100
	;; [unrolled: 1-line block ×3, first 2 shown]
	s_clause 0x3
	scratch_store_b128 off, v[16:19], off offset:90
	scratch_store_b128 off, v[20:23], off offset:106
	scratch_store_b16 off, v25, off offset:126
	scratch_store_b32 off, v24, off offset:122
	s_waitcnt vmcnt(7)
	v_lshrrev_b32_e32 v0, 16, v33
	v_lshrrev_b32_e32 v1, 16, v34
	;; [unrolled: 1-line block ×4, first 2 shown]
	v_and_b32_e32 v4, 0xffff, v34
	v_and_b32_e32 v5, 0xffff, v36
	v_mov_b32_dpp v85, v0 quad_perm:[1,2,3,0] row_mask:0xf bank_mask:0xf
	v_mov_b32_dpp v95, v2 quad_perm:[1,2,3,0] row_mask:0xf bank_mask:0xf
	s_waitcnt vmcnt(6)
	v_lshrrev_b32_e32 v6, 16, v37
	v_lshrrev_b32_e32 v7, 16, v38
	v_lshrrev_b32_e32 v8, 16, v39
	v_lshrrev_b32_e32 v9, 16, v40
	v_and_b32_e32 v10, 0xffff, v38
	v_and_b32_e32 v11, 0xffff, v40
	v_mov_b32_dpp v86, v4 quad_perm:[2,3,0,1] row_mask:0xf bank_mask:0xf
	v_mov_b32_dpp v96, v5 quad_perm:[2,3,0,1] row_mask:0xf bank_mask:0xf
	s_waitcnt vmcnt(5)
	v_lshrrev_b32_e32 v12, 16, v41
	v_lshrrev_b32_e32 v13, 16, v42
	v_lshrrev_b32_e32 v14, 16, v43
	v_lshrrev_b32_e32 v15, 16, v44
	v_and_b32_e32 v26, 0xffff, v42
	v_and_b32_e32 v27, 0xffff, v44
	s_waitcnt vmcnt(4)
	v_lshrrev_b32_e32 v28, 16, v45
	v_lshrrev_b32_e32 v29, 16, v46
	v_lshrrev_b32_e32 v30, 16, v47
	v_lshrrev_b32_e32 v31, 16, v48
	v_and_b32_e32 v32, 0xffff, v46
	v_and_b32_e32 v34, 0xffff, v48
	;; [unrolled: 7-line block ×6, first 2 shown]
	v_mov_b32_dpp v62, v1 quad_perm:[3,0,1,2] row_mask:0xf bank_mask:0xf
	v_mov_b32_dpp v64, v3 quad_perm:[3,0,1,2] row_mask:0xf bank_mask:0xf
	v_mov_b32_dpp v81, v6 quad_perm:[1,2,3,0] row_mask:0xf bank_mask:0xf
	v_mov_b32_dpp v82, v10 quad_perm:[2,3,0,1] row_mask:0xf bank_mask:0xf
	v_mov_b32_dpp v58, v7 quad_perm:[3,0,1,2] row_mask:0xf bank_mask:0xf
	v_mov_b32_dpp v93, v8 quad_perm:[1,2,3,0] row_mask:0xf bank_mask:0xf
	v_mov_b32_dpp v94, v11 quad_perm:[2,3,0,1] row_mask:0xf bank_mask:0xf
	v_mov_b32_dpp v60, v9 quad_perm:[3,0,1,2] row_mask:0xf bank_mask:0xf
	v_mov_b32_dpp v77, v12 quad_perm:[1,2,3,0] row_mask:0xf bank_mask:0xf
	v_mov_b32_dpp v78, v26 quad_perm:[2,3,0,1] row_mask:0xf bank_mask:0xf
	v_mov_b32_dpp v54, v13 quad_perm:[3,0,1,2] row_mask:0xf bank_mask:0xf
	v_mov_b32_dpp v91, v14 quad_perm:[1,2,3,0] row_mask:0xf bank_mask:0xf
	v_mov_b32_dpp v92, v27 quad_perm:[2,3,0,1] row_mask:0xf bank_mask:0xf
	v_mov_b32_dpp v56, v15 quad_perm:[3,0,1,2] row_mask:0xf bank_mask:0xf
	v_mov_b32_dpp v73, v28 quad_perm:[1,2,3,0] row_mask:0xf bank_mask:0xf
	v_mov_b32_dpp v74, v32 quad_perm:[2,3,0,1] row_mask:0xf bank_mask:0xf
	v_mov_b32_dpp v50, v29 quad_perm:[3,0,1,2] row_mask:0xf bank_mask:0xf
	v_mov_b32_dpp v89, v30 quad_perm:[1,2,3,0] row_mask:0xf bank_mask:0xf
	v_mov_b32_dpp v90, v34 quad_perm:[2,3,0,1] row_mask:0xf bank_mask:0xf
	v_mov_b32_dpp v52, v31 quad_perm:[3,0,1,2] row_mask:0xf bank_mask:0xf
	v_mov_b32_dpp v71, v36 quad_perm:[1,2,3,0] row_mask:0xf bank_mask:0xf
	v_mov_b32_dpp v72, v44 quad_perm:[2,3,0,1] row_mask:0xf bank_mask:0xf
	v_mov_b32_dpp v46, v38 quad_perm:[3,0,1,2] row_mask:0xf bank_mask:0xf
	v_mov_b32_dpp v87, v40 quad_perm:[1,2,3,0] row_mask:0xf bank_mask:0xf
	v_mov_b32_dpp v88, v48 quad_perm:[2,3,0,1] row_mask:0xf bank_mask:0xf
	v_mov_b32_dpp v48, v42 quad_perm:[3,0,1,2] row_mask:0xf bank_mask:0xf
	v_mov_b32_dpp v69, v65 quad_perm:[1,2,3,0] row_mask:0xf bank_mask:0xf
	v_mov_b32_dpp v70, v70 quad_perm:[2,3,0,1] row_mask:0xf bank_mask:0xf
	v_mov_b32_dpp v42, v66 quad_perm:[3,0,1,2] row_mask:0xf bank_mask:0xf
	v_mov_b32_dpp v83, v67 quad_perm:[1,2,3,0] row_mask:0xf bank_mask:0xf
	v_mov_b32_dpp v84, v75 quad_perm:[2,3,0,1] row_mask:0xf bank_mask:0xf
	v_mov_b32_dpp v44, v68 quad_perm:[3,0,1,2] row_mask:0xf bank_mask:0xf
	v_mov_b32_dpp v67, v76 quad_perm:[1,2,3,0] row_mask:0xf bank_mask:0xf
	v_mov_b32_dpp v68, v99 quad_perm:[2,3,0,1] row_mask:0xf bank_mask:0xf
	v_mov_b32_dpp v38, v79 quad_perm:[3,0,1,2] row_mask:0xf bank_mask:0xf
	v_mov_b32_dpp v79, v80 quad_perm:[1,2,3,0] row_mask:0xf bank_mask:0xf
	v_mov_b32_dpp v80, v100 quad_perm:[2,3,0,1] row_mask:0xf bank_mask:0xf
	v_mov_b32_dpp v40, v98 quad_perm:[3,0,1,2] row_mask:0xf bank_mask:0xf
	v_mov_b32_dpp v65, v101 quad_perm:[1,2,3,0] row_mask:0xf bank_mask:0xf
	v_mov_b32_dpp v66, v105 quad_perm:[2,3,0,1] row_mask:0xf bank_mask:0xf
	v_mov_b32_dpp v34, v102 quad_perm:[3,0,1,2] row_mask:0xf bank_mask:0xf
	v_mov_b32_dpp v75, v103 quad_perm:[1,2,3,0] row_mask:0xf bank_mask:0xf
	v_mov_b32_dpp v76, v106 quad_perm:[2,3,0,1] row_mask:0xf bank_mask:0xf
	v_mov_b32_dpp v36, v104 quad_perm:[3,0,1,2] row_mask:0xf bank_mask:0xf
.LBB0_4:
	v_lshlrev_b32_e32 v24, 1, v97
	s_waitcnt vmcnt(0)
	v_perm_b32 v2, v95, v35, 0x5040100
	v_perm_b32 v0, v85, v33, 0x5040100
	;; [unrolled: 1-line block ×8, first 2 shown]
	s_clause 0x1
	global_store_b128 v24, v[0:3], s[6:7]
	global_store_b128 v24, v[4:7], s[6:7] offset:16
	v_perm_b32 v2, v91, v43, 0x5040100
	v_perm_b32 v0, v77, v41, 0x5040100
	;; [unrolled: 1-line block ×24, first 2 shown]
	s_clause 0x5
	global_store_b128 v24, v[0:3], s[6:7] offset:32
	global_store_b128 v24, v[4:7], s[6:7] offset:48
	;; [unrolled: 1-line block ×6, first 2 shown]
	s_endpgm
	.section	.rodata,"a",@progbits
	.p2align	6, 0x0
	.amdhsa_kernel _Z20warp_exchange_kernelILj64ELj16EN6common25StripedToBlockedShuffleOpE12hip_bfloat16EvPT2_S4_b
		.amdhsa_group_segment_fixed_size 0
		.amdhsa_private_segment_fixed_size 272
		.amdhsa_kernarg_size 20
		.amdhsa_user_sgpr_count 15
		.amdhsa_user_sgpr_dispatch_ptr 0
		.amdhsa_user_sgpr_queue_ptr 0
		.amdhsa_user_sgpr_kernarg_segment_ptr 1
		.amdhsa_user_sgpr_dispatch_id 0
		.amdhsa_user_sgpr_private_segment_size 0
		.amdhsa_wavefront_size32 1
		.amdhsa_uses_dynamic_stack 0
		.amdhsa_enable_private_segment 1
		.amdhsa_system_sgpr_workgroup_id_x 1
		.amdhsa_system_sgpr_workgroup_id_y 0
		.amdhsa_system_sgpr_workgroup_id_z 0
		.amdhsa_system_sgpr_workgroup_info 0
		.amdhsa_system_vgpr_workitem_id 0
		.amdhsa_next_free_vgpr 170
		.amdhsa_next_free_sgpr 8
		.amdhsa_reserve_vcc 1
		.amdhsa_float_round_mode_32 0
		.amdhsa_float_round_mode_16_64 0
		.amdhsa_float_denorm_mode_32 3
		.amdhsa_float_denorm_mode_16_64 3
		.amdhsa_dx10_clamp 1
		.amdhsa_ieee_mode 1
		.amdhsa_fp16_overflow 0
		.amdhsa_workgroup_processor_mode 1
		.amdhsa_memory_ordered 1
		.amdhsa_forward_progress 0
		.amdhsa_shared_vgpr_count 0
		.amdhsa_exception_fp_ieee_invalid_op 0
		.amdhsa_exception_fp_denorm_src 0
		.amdhsa_exception_fp_ieee_div_zero 0
		.amdhsa_exception_fp_ieee_overflow 0
		.amdhsa_exception_fp_ieee_underflow 0
		.amdhsa_exception_fp_ieee_inexact 0
		.amdhsa_exception_int_div_zero 0
	.end_amdhsa_kernel
	.section	.text._Z20warp_exchange_kernelILj64ELj16EN6common25StripedToBlockedShuffleOpE12hip_bfloat16EvPT2_S4_b,"axG",@progbits,_Z20warp_exchange_kernelILj64ELj16EN6common25StripedToBlockedShuffleOpE12hip_bfloat16EvPT2_S4_b,comdat
.Lfunc_end0:
	.size	_Z20warp_exchange_kernelILj64ELj16EN6common25StripedToBlockedShuffleOpE12hip_bfloat16EvPT2_S4_b, .Lfunc_end0-_Z20warp_exchange_kernelILj64ELj16EN6common25StripedToBlockedShuffleOpE12hip_bfloat16EvPT2_S4_b
                                        ; -- End function
	.section	.AMDGPU.csdata,"",@progbits
; Kernel info:
; codeLenInByte = 10556
; NumSgprs: 10
; NumVgprs: 170
; ScratchSize: 272
; MemoryBound: 0
; FloatMode: 240
; IeeeMode: 1
; LDSByteSize: 0 bytes/workgroup (compile time only)
; SGPRBlocks: 1
; VGPRBlocks: 21
; NumSGPRsForWavesPerEU: 10
; NumVGPRsForWavesPerEU: 170
; Occupancy: 8
; WaveLimiterHint : 1
; COMPUTE_PGM_RSRC2:SCRATCH_EN: 1
; COMPUTE_PGM_RSRC2:USER_SGPR: 15
; COMPUTE_PGM_RSRC2:TRAP_HANDLER: 0
; COMPUTE_PGM_RSRC2:TGID_X_EN: 1
; COMPUTE_PGM_RSRC2:TGID_Y_EN: 0
; COMPUTE_PGM_RSRC2:TGID_Z_EN: 0
; COMPUTE_PGM_RSRC2:TIDIG_COMP_CNT: 0
	.section	.text._Z20warp_exchange_kernelILj64ELj8EN6common25StripedToBlockedShuffleOpElEvPT2_S3_b,"axG",@progbits,_Z20warp_exchange_kernelILj64ELj8EN6common25StripedToBlockedShuffleOpElEvPT2_S3_b,comdat
	.protected	_Z20warp_exchange_kernelILj64ELj8EN6common25StripedToBlockedShuffleOpElEvPT2_S3_b ; -- Begin function _Z20warp_exchange_kernelILj64ELj8EN6common25StripedToBlockedShuffleOpElEvPT2_S3_b
	.globl	_Z20warp_exchange_kernelILj64ELj8EN6common25StripedToBlockedShuffleOpElEvPT2_S3_b
	.p2align	8
	.type	_Z20warp_exchange_kernelILj64ELj8EN6common25StripedToBlockedShuffleOpElEvPT2_S3_b,@function
_Z20warp_exchange_kernelILj64ELj8EN6common25StripedToBlockedShuffleOpElEvPT2_S3_b: ; @_Z20warp_exchange_kernelILj64ELj8EN6common25StripedToBlockedShuffleOpElEvPT2_S3_b
; %bb.0:
	s_load_b128 s[4:7], s[0:1], 0x0
	v_lshlrev_b32_e32 v1, 9, v0
	s_load_b32 s0, s[0:1], 0x10
	v_lshlrev_b32_e32 v189, 6, v0
	v_mbcnt_lo_u32_b32 v190, -1, 0
	s_waitcnt lgkmcnt(0)
	s_clause 0x1f
	global_load_b128 v[69:72], v1, s[4:5] offset:48
	global_load_b128 v[73:76], v1, s[4:5] offset:32
	;; [unrolled: 1-line block ×3, first 2 shown]
	global_load_b128 v[129:132], v1, s[4:5]
	global_load_b128 v[133:136], v1, s[4:5] offset:112
	global_load_b128 v[137:140], v1, s[4:5] offset:96
	;; [unrolled: 1-line block ×28, first 2 shown]
	s_waitcnt vmcnt(3)
	s_clause 0x10
	scratch_store_b128 off, v[65:68], off offset:1024
	scratch_store_b128 off, v[69:72], off offset:1040
	;; [unrolled: 1-line block ×17, first 2 shown]
	s_waitcnt vmcnt(2)
	scratch_store_b128 off, v[181:184], off offset:1296 ; 16-byte Folded Spill
	s_waitcnt vmcnt(1)
	scratch_store_b128 off, v[2:5], off offset:1312 ; 16-byte Folded Spill
	;; [unrolled: 2-line block ×3, first 2 shown]
	s_bitcmp0_b32 s0, 0
	s_mov_b32 s0, 0
	s_cbranch_scc0 .LBB1_2
; %bb.1:
	v_lshlrev_b32_e32 v0, 2, v190
	s_clause 0x1f
	scratch_store_b128 off, v[129:132], off
	scratch_store_b128 off, v[77:80], off offset:16
	scratch_store_b128 off, v[73:76], off offset:32
	;; [unrolled: 1-line block ×31, first 2 shown]
	v_xor_b32_e32 v64, 16, v0
	ds_bpermute_b32 v10, v64, v2
	ds_bpermute_b32 v2, v64, v65
	v_bfe_u32 v65, v190, 2, 1
	ds_bpermute_b32 v62, v64, v125
	ds_bpermute_b32 v63, v64, v126
	;; [unrolled: 1-line block ×4, first 2 shown]
	v_lshlrev_b32_e32 v66, 3, v65
	ds_bpermute_b32 v0, v64, v67
	ds_bpermute_b32 v60, v64, v127
	;; [unrolled: 1-line block ×4, first 2 shown]
	v_or_b32_e32 v67, 0, v66
	ds_bpermute_b32 v59, v64, v122
	ds_bpermute_b32 v56, v64, v123
	s_clause 0x1f
	scratch_store_b64 v67, v[129:130], off
	scratch_store_b64 v67, v[131:132], off offset:16
	scratch_store_b64 v67, v[77:78], off offset:32
	;; [unrolled: 1-line block ×31, first 2 shown]
	v_xor_b32_e32 v67, 1, v65
	ds_bpermute_b32 v57, v64, v124
	ds_bpermute_b32 v54, v64, v113
	;; [unrolled: 1-line block ×4, first 2 shown]
	v_lshl_or_b32 v67, v67, 3, 0
	ds_bpermute_b32 v53, v64, v116
	ds_bpermute_b32 v50, v64, v105
	;; [unrolled: 1-line block ×4, first 2 shown]
	s_waitcnt lgkmcnt(16)
	scratch_store_b64 v67, v[62:63], off
	v_xor_b32_e32 v62, 3, v65
	ds_bpermute_b32 v49, v64, v108
	ds_bpermute_b32 v46, v64, v117
	;; [unrolled: 1-line block ×4, first 2 shown]
	v_lshlrev_b32_e32 v62, 3, v62
	ds_bpermute_b32 v45, v64, v120
	ds_bpermute_b32 v42, v64, v109
	;; [unrolled: 1-line block ×4, first 2 shown]
	s_waitcnt lgkmcnt(19)
	scratch_store_b64 v62, v[60:61], off
	v_sub_nc_u32_e32 v60, 0, v66
	ds_bpermute_b32 v41, v64, v112
	ds_bpermute_b32 v38, v64, v97
	;; [unrolled: 1-line block ×4, first 2 shown]
	s_waitcnt lgkmcnt(21)
	scratch_store_b64 v60, v[58:59], off offset:40
	v_xor_b32_e32 v58, 7, v65
	ds_bpermute_b32 v37, v64, v100
	ds_bpermute_b32 v34, v64, v89
	;; [unrolled: 1-line block ×4, first 2 shown]
	v_lshlrev_b32_e32 v58, 3, v58
	ds_bpermute_b32 v33, v64, v92
	s_waitcnt lgkmcnt(24)
	scratch_store_b64 v58, v[56:57], off
	s_waitcnt lgkmcnt(22)
	scratch_store_b64 v60, v[54:55], off offset:72
	s_waitcnt lgkmcnt(20)
	scratch_store_b64 v60, v[52:53], off offset:88
	;; [unrolled: 2-line block ×3, first 2 shown]
	v_xor_b32_e32 v50, 15, v65
	ds_bpermute_b32 v30, v64, v101
	ds_bpermute_b32 v31, v64, v102
	;; [unrolled: 1-line block ×10, first 2 shown]
	v_lshlrev_b32_e32 v50, 3, v50
	ds_bpermute_b32 v20, v64, v87
	ds_bpermute_b32 v21, v64, v88
	;; [unrolled: 1-line block ×11, first 2 shown]
	s_waitcnt lgkmcnt(37)
	scratch_store_b64 v50, v[48:49], off
	s_waitcnt lgkmcnt(35)
	scratch_store_b64 v60, v[46:47], off offset:136
	s_waitcnt lgkmcnt(33)
	scratch_store_b64 v60, v[44:45], off offset:152
	;; [unrolled: 2-line block ×7, first 2 shown]
	v_xor_b32_e32 v34, 31, v65
	ds_bpermute_b32 v8, v64, v4
	ds_bpermute_b32 v9, v64, v5
	;; [unrolled: 1-line block ×6, first 2 shown]
	v_lshlrev_b32_e32 v34, 3, v34
	s_waitcnt lgkmcnt(27)
	scratch_store_b64 v34, v[32:33], off
	s_waitcnt lgkmcnt(25)
	scratch_store_b64 v60, v[30:31], off offset:264
	s_waitcnt lgkmcnt(23)
	scratch_store_b64 v60, v[28:29], off offset:280
	;; [unrolled: 2-line block ×9, first 2 shown]
	s_waitcnt lgkmcnt(7)
	s_clause 0x1
	scratch_store_b64 v60, v[12:13], off offset:408
	scratch_store_b64 v60, v[10:11], off offset:424
	s_waitcnt lgkmcnt(4)
	scratch_store_b64 v60, v[8:9], off offset:440
	s_waitcnt lgkmcnt(2)
	;; [unrolled: 2-line block ×3, first 2 shown]
	s_clause 0x1
	scratch_store_b64 v60, v[4:5], off offset:472
	scratch_store_b64 v60, v[2:3], off offset:488
	v_xor_b32_e32 v2, 63, v65
	scratch_load_b64 v[161:162], off, off
	v_lshlrev_b32_e32 v2, 3, v2
	scratch_store_b64 v2, v[0:1], off
	scratch_load_b64 v[0:1], off, off offset:8
	s_waitcnt vmcnt(0)
	ds_bpermute_b32 v159, v64, v0
	ds_bpermute_b32 v160, v64, v1
	scratch_load_b64 v[0:1], off, off offset:24
	s_waitcnt vmcnt(0)
	ds_bpermute_b32 v77, v64, v0
	ds_bpermute_b32 v78, v64, v1
	scratch_load_b64 v[0:1], off, off offset:40
	s_waitcnt lgkmcnt(2)
	scratch_store_b64 off, v[159:160], off offset:8
	s_waitcnt vmcnt(0)
	ds_bpermute_b32 v79, v64, v0
	ds_bpermute_b32 v80, v64, v1
	s_waitcnt lgkmcnt(2)
	scratch_store_b64 off, v[77:78], off offset:24
	scratch_load_b64 v[0:1], off, off offset:56
	s_waitcnt vmcnt(0)
	ds_bpermute_b32 v149, v64, v0
	ds_bpermute_b32 v150, v64, v1
	s_waitcnt lgkmcnt(2)
	scratch_store_b64 off, v[79:80], off offset:40
	scratch_load_b64 v[0:1], off, off offset:72
	s_waitcnt lgkmcnt(0)
	scratch_store_b64 off, v[149:150], off offset:56
	s_waitcnt vmcnt(0)
	ds_bpermute_b32 v151, v64, v0
	ds_bpermute_b32 v152, v64, v1
	scratch_load_b64 v[0:1], off, off offset:88
	s_waitcnt vmcnt(0)
	ds_bpermute_b32 v153, v64, v0
	ds_bpermute_b32 v154, v64, v1
	scratch_load_b64 v[0:1], off, off offset:104
	s_waitcnt lgkmcnt(2)
	scratch_store_b64 off, v[151:152], off offset:72
	s_waitcnt vmcnt(0)
	ds_bpermute_b32 v155, v64, v0
	ds_bpermute_b32 v156, v64, v1
	s_waitcnt lgkmcnt(2)
	scratch_store_b64 off, v[153:154], off offset:88
	scratch_load_b128 v[0:3], off, off offset:120
	s_waitcnt vmcnt(0)
	ds_bpermute_b32 v157, v64, v0
	ds_bpermute_b32 v158, v64, v1
	s_waitcnt lgkmcnt(2)
	scratch_store_b64 off, v[155:156], off offset:104
	scratch_load_b64 v[0:1], off, off offset:136
	v_mov_b32_dpp v73, v2 quad_perm:[3,0,1,2] row_mask:0xf bank_mask:0xf
	v_mov_b32_dpp v74, v3 quad_perm:[3,0,1,2] row_mask:0xf bank_mask:0xf
	s_waitcnt lgkmcnt(0)
	scratch_store_b64 off, v[157:158], off offset:120
	s_waitcnt vmcnt(0)
	ds_bpermute_b32 v0, v64, v0
	ds_bpermute_b32 v1, v64, v1
	s_waitcnt lgkmcnt(0)
	scratch_store_b64 off, v[0:1], off offset:136
	scratch_load_b64 v[0:1], off, off offset:152
	s_waitcnt vmcnt(0)
	ds_bpermute_b32 v0, v64, v0
	ds_bpermute_b32 v1, v64, v1
	s_waitcnt lgkmcnt(0)
	scratch_store_b64 off, v[0:1], off offset:152
	scratch_load_b64 v[0:1], off, off offset:168
	;; [unrolled: 6-line block ×23, first 2 shown]
	s_waitcnt vmcnt(0)
	ds_bpermute_b32 v0, v64, v0
	ds_bpermute_b32 v1, v64, v1
	s_waitcnt lgkmcnt(0)
	scratch_store_b64 off, v[0:1], off offset:504
	s_clause 0x1
	scratch_load_b128 v[0:3], off, off offset:136
	scratch_load_b64 v[7:8], off, off offset:504
	s_waitcnt vmcnt(1)
	v_mov_b32_dpp v75, v0 quad_perm:[3,0,1,2] row_mask:0xf bank_mask:0xf
	v_mov_b32_dpp v76, v1 quad_perm:[3,0,1,2] row_mask:0xf bank_mask:0xf
	;; [unrolled: 1-line block ×4, first 2 shown]
	scratch_load_b128 v[0:3], off, off offset:152
	s_waitcnt vmcnt(1)
	v_mov_b32_dpp v7, v7 quad_perm:[1,2,3,0] row_mask:0xf bank_mask:0xf
	v_mov_b32_dpp v8, v8 quad_perm:[1,2,3,0] row_mask:0xf bank_mask:0xf
	s_waitcnt vmcnt(0)
	v_mov_b32_dpp v71, v0 quad_perm:[3,0,1,2] row_mask:0xf bank_mask:0xf
	v_mov_b32_dpp v72, v1 quad_perm:[3,0,1,2] row_mask:0xf bank_mask:0xf
	v_mov_b32_dpp v145, v2 quad_perm:[3,0,1,2] row_mask:0xf bank_mask:0xf
	v_mov_b32_dpp v146, v3 quad_perm:[3,0,1,2] row_mask:0xf bank_mask:0xf
	scratch_load_b128 v[0:3], off, off offset:168
	s_clause 0x1
	scratch_store_b128 off, v[73:76], off offset:128
	scratch_store_b128 off, v[69:72], off offset:144
	s_waitcnt vmcnt(0)
	v_mov_b32_dpp v147, v0 quad_perm:[3,0,1,2] row_mask:0xf bank_mask:0xf
	v_mov_b32_dpp v148, v1 quad_perm:[3,0,1,2] row_mask:0xf bank_mask:0xf
	v_mov_b32_dpp v141, v2 quad_perm:[3,0,1,2] row_mask:0xf bank_mask:0xf
	v_mov_b32_dpp v142, v3 quad_perm:[3,0,1,2] row_mask:0xf bank_mask:0xf
	scratch_load_b128 v[0:3], off, off offset:184
	s_waitcnt vmcnt(0)
	v_mov_b32_dpp v143, v0 quad_perm:[3,0,1,2] row_mask:0xf bank_mask:0xf
	v_mov_b32_dpp v144, v1 quad_perm:[3,0,1,2] row_mask:0xf bank_mask:0xf
	v_mov_b32_dpp v137, v2 quad_perm:[3,0,1,2] row_mask:0xf bank_mask:0xf
	v_mov_b32_dpp v138, v3 quad_perm:[3,0,1,2] row_mask:0xf bank_mask:0xf
	scratch_load_b128 v[0:3], off, off offset:200
	s_clause 0x1
	scratch_store_b128 off, v[145:148], off offset:160
	scratch_store_b128 off, v[141:144], off offset:176
	s_waitcnt vmcnt(0)
	v_mov_b32_dpp v139, v0 quad_perm:[3,0,1,2] row_mask:0xf bank_mask:0xf
	v_mov_b32_dpp v140, v1 quad_perm:[3,0,1,2] row_mask:0xf bank_mask:0xf
	v_mov_b32_dpp v133, v2 quad_perm:[3,0,1,2] row_mask:0xf bank_mask:0xf
	v_mov_b32_dpp v134, v3 quad_perm:[3,0,1,2] row_mask:0xf bank_mask:0xf
	scratch_load_b128 v[0:3], off, off offset:216
	s_waitcnt vmcnt(0)
	v_mov_b32_dpp v135, v0 quad_perm:[3,0,1,2] row_mask:0xf bank_mask:0xf
	v_mov_b32_dpp v136, v1 quad_perm:[3,0,1,2] row_mask:0xf bank_mask:0xf
	v_mov_b32_dpp v129, v2 quad_perm:[3,0,1,2] row_mask:0xf bank_mask:0xf
	v_mov_b32_dpp v130, v3 quad_perm:[3,0,1,2] row_mask:0xf bank_mask:0xf
	scratch_load_b128 v[0:3], off, off offset:232
	s_clause 0x1
	scratch_store_b128 off, v[137:140], off offset:192
	scratch_store_b128 off, v[133:136], off offset:208
	s_waitcnt vmcnt(0)
	v_mov_b32_dpp v131, v0 quad_perm:[3,0,1,2] row_mask:0xf bank_mask:0xf
	v_mov_b32_dpp v132, v1 quad_perm:[3,0,1,2] row_mask:0xf bank_mask:0xf
	v_mov_b32_dpp v65, v2 quad_perm:[3,0,1,2] row_mask:0xf bank_mask:0xf
	v_mov_b32_dpp v66, v3 quad_perm:[3,0,1,2] row_mask:0xf bank_mask:0xf
	scratch_load_b128 v[0:3], off, off offset:248
	s_waitcnt vmcnt(0)
	v_mov_b32_dpp v67, v0 quad_perm:[3,0,1,2] row_mask:0xf bank_mask:0xf
	v_mov_b32_dpp v68, v1 quad_perm:[3,0,1,2] row_mask:0xf bank_mask:0xf
	v_mov_b32_dpp v61, v2 quad_perm:[2,3,0,1] row_mask:0xf bank_mask:0xf
	v_mov_b32_dpp v62, v3 quad_perm:[2,3,0,1] row_mask:0xf bank_mask:0xf
	scratch_load_b128 v[0:3], off, off offset:264
	s_clause 0x1
	scratch_store_b128 off, v[129:132], off offset:224
	scratch_store_b128 off, v[65:68], off offset:240
	s_waitcnt vmcnt(0)
	v_mov_b32_dpp v63, v0 quad_perm:[2,3,0,1] row_mask:0xf bank_mask:0xf
	v_mov_b32_dpp v64, v1 quad_perm:[2,3,0,1] row_mask:0xf bank_mask:0xf
	v_mov_b32_dpp v57, v2 quad_perm:[2,3,0,1] row_mask:0xf bank_mask:0xf
	v_mov_b32_dpp v58, v3 quad_perm:[2,3,0,1] row_mask:0xf bank_mask:0xf
	scratch_load_b128 v[0:3], off, off offset:280
	s_waitcnt vmcnt(0)
	v_mov_b32_dpp v59, v0 quad_perm:[2,3,0,1] row_mask:0xf bank_mask:0xf
	v_mov_b32_dpp v60, v1 quad_perm:[2,3,0,1] row_mask:0xf bank_mask:0xf
	v_mov_b32_dpp v53, v2 quad_perm:[2,3,0,1] row_mask:0xf bank_mask:0xf
	v_mov_b32_dpp v54, v3 quad_perm:[2,3,0,1] row_mask:0xf bank_mask:0xf
	scratch_load_b128 v[0:3], off, off offset:296
	s_clause 0x1
	scratch_store_b128 off, v[61:64], off offset:256
	scratch_store_b128 off, v[57:60], off offset:272
	s_waitcnt vmcnt(0)
	v_mov_b32_dpp v55, v0 quad_perm:[2,3,0,1] row_mask:0xf bank_mask:0xf
	v_mov_b32_dpp v56, v1 quad_perm:[2,3,0,1] row_mask:0xf bank_mask:0xf
	v_mov_b32_dpp v49, v2 quad_perm:[2,3,0,1] row_mask:0xf bank_mask:0xf
	v_mov_b32_dpp v50, v3 quad_perm:[2,3,0,1] row_mask:0xf bank_mask:0xf
	scratch_load_b128 v[0:3], off, off offset:312
	s_waitcnt vmcnt(0)
	v_mov_b32_dpp v51, v0 quad_perm:[2,3,0,1] row_mask:0xf bank_mask:0xf
	v_mov_b32_dpp v52, v1 quad_perm:[2,3,0,1] row_mask:0xf bank_mask:0xf
	v_mov_b32_dpp v45, v2 quad_perm:[2,3,0,1] row_mask:0xf bank_mask:0xf
	v_mov_b32_dpp v46, v3 quad_perm:[2,3,0,1] row_mask:0xf bank_mask:0xf
	scratch_load_b128 v[0:3], off, off offset:328
	s_clause 0x1
	scratch_store_b128 off, v[53:56], off offset:288
	scratch_store_b128 off, v[49:52], off offset:304
	s_waitcnt vmcnt(0)
	v_mov_b32_dpp v47, v0 quad_perm:[2,3,0,1] row_mask:0xf bank_mask:0xf
	v_mov_b32_dpp v48, v1 quad_perm:[2,3,0,1] row_mask:0xf bank_mask:0xf
	v_mov_b32_dpp v41, v2 quad_perm:[2,3,0,1] row_mask:0xf bank_mask:0xf
	v_mov_b32_dpp v42, v3 quad_perm:[2,3,0,1] row_mask:0xf bank_mask:0xf
	scratch_load_b128 v[0:3], off, off offset:344
	s_waitcnt vmcnt(0)
	v_mov_b32_dpp v43, v0 quad_perm:[2,3,0,1] row_mask:0xf bank_mask:0xf
	v_mov_b32_dpp v44, v1 quad_perm:[2,3,0,1] row_mask:0xf bank_mask:0xf
	v_mov_b32_dpp v33, v2 quad_perm:[2,3,0,1] row_mask:0xf bank_mask:0xf
	v_mov_b32_dpp v34, v3 quad_perm:[2,3,0,1] row_mask:0xf bank_mask:0xf
	scratch_load_b128 v[0:3], off, off offset:360
	s_clause 0x1
	scratch_store_b128 off, v[45:48], off offset:320
	scratch_store_b128 off, v[41:44], off offset:336
	s_waitcnt vmcnt(0)
	v_mov_b32_dpp v35, v0 quad_perm:[2,3,0,1] row_mask:0xf bank_mask:0xf
	v_mov_b32_dpp v36, v1 quad_perm:[2,3,0,1] row_mask:0xf bank_mask:0xf
	v_mov_b32_dpp v37, v2 quad_perm:[2,3,0,1] row_mask:0xf bank_mask:0xf
	v_mov_b32_dpp v38, v3 quad_perm:[2,3,0,1] row_mask:0xf bank_mask:0xf
	scratch_load_b128 v[0:3], off, off offset:376
	s_waitcnt vmcnt(0)
	v_mov_b32_dpp v39, v0 quad_perm:[2,3,0,1] row_mask:0xf bank_mask:0xf
	v_mov_b32_dpp v40, v1 quad_perm:[2,3,0,1] row_mask:0xf bank_mask:0xf
	v_mov_b32_dpp v29, v2 quad_perm:[1,2,3,0] row_mask:0xf bank_mask:0xf
	v_mov_b32_dpp v30, v3 quad_perm:[1,2,3,0] row_mask:0xf bank_mask:0xf
	scratch_load_b128 v[0:3], off, off offset:392
	s_clause 0x1
	scratch_store_b128 off, v[33:36], off offset:352
	scratch_store_b128 off, v[37:40], off offset:368
	s_waitcnt vmcnt(0)
	v_mov_b32_dpp v31, v0 quad_perm:[1,2,3,0] row_mask:0xf bank_mask:0xf
	v_mov_b32_dpp v32, v1 quad_perm:[1,2,3,0] row_mask:0xf bank_mask:0xf
	v_mov_b32_dpp v25, v2 quad_perm:[1,2,3,0] row_mask:0xf bank_mask:0xf
	v_mov_b32_dpp v26, v3 quad_perm:[1,2,3,0] row_mask:0xf bank_mask:0xf
	scratch_load_b128 v[0:3], off, off offset:408
	s_waitcnt vmcnt(0)
	v_mov_b32_dpp v27, v0 quad_perm:[1,2,3,0] row_mask:0xf bank_mask:0xf
	v_mov_b32_dpp v28, v1 quad_perm:[1,2,3,0] row_mask:0xf bank_mask:0xf
	v_mov_b32_dpp v21, v2 quad_perm:[1,2,3,0] row_mask:0xf bank_mask:0xf
	v_mov_b32_dpp v22, v3 quad_perm:[1,2,3,0] row_mask:0xf bank_mask:0xf
	scratch_load_b128 v[0:3], off, off offset:424
	s_clause 0x1
	scratch_store_b128 off, v[29:32], off offset:384
	scratch_store_b128 off, v[25:28], off offset:400
	s_waitcnt vmcnt(0)
	v_mov_b32_dpp v23, v0 quad_perm:[1,2,3,0] row_mask:0xf bank_mask:0xf
	v_mov_b32_dpp v24, v1 quad_perm:[1,2,3,0] row_mask:0xf bank_mask:0xf
	v_mov_b32_dpp v17, v2 quad_perm:[1,2,3,0] row_mask:0xf bank_mask:0xf
	v_mov_b32_dpp v18, v3 quad_perm:[1,2,3,0] row_mask:0xf bank_mask:0xf
	scratch_load_b128 v[0:3], off, off offset:440
	s_waitcnt vmcnt(0)
	v_mov_b32_dpp v19, v0 quad_perm:[1,2,3,0] row_mask:0xf bank_mask:0xf
	v_mov_b32_dpp v20, v1 quad_perm:[1,2,3,0] row_mask:0xf bank_mask:0xf
	v_mov_b32_dpp v13, v2 quad_perm:[1,2,3,0] row_mask:0xf bank_mask:0xf
	v_mov_b32_dpp v14, v3 quad_perm:[1,2,3,0] row_mask:0xf bank_mask:0xf
	scratch_load_b128 v[0:3], off, off offset:456
	s_clause 0x1
	scratch_store_b128 off, v[21:24], off offset:416
	scratch_store_b128 off, v[17:20], off offset:432
	s_waitcnt vmcnt(0)
	v_mov_b32_dpp v15, v0 quad_perm:[1,2,3,0] row_mask:0xf bank_mask:0xf
	v_mov_b32_dpp v16, v1 quad_perm:[1,2,3,0] row_mask:0xf bank_mask:0xf
	v_mov_b32_dpp v9, v2 quad_perm:[1,2,3,0] row_mask:0xf bank_mask:0xf
	v_mov_b32_dpp v10, v3 quad_perm:[1,2,3,0] row_mask:0xf bank_mask:0xf
	scratch_load_b128 v[0:3], off, off offset:472
	s_waitcnt vmcnt(0)
	v_mov_b32_dpp v12, v1 quad_perm:[1,2,3,0] row_mask:0xf bank_mask:0xf
	v_mov_b32_dpp v1, v3 quad_perm:[1,2,3,0] row_mask:0xf bank_mask:0xf
	scratch_load_b128 v[3:6], off, off offset:488
	v_mov_b32_dpp v11, v0 quad_perm:[1,2,3,0] row_mask:0xf bank_mask:0xf
	v_mov_b32_dpp v0, v2 quad_perm:[1,2,3,0] row_mask:0xf bank_mask:0xf
	s_clause 0x1
	scratch_store_b128 off, v[13:16], off offset:448
	scratch_store_b128 off, v[9:12], off offset:464
	s_waitcnt vmcnt(0)
	v_mov_b32_dpp v2, v3 quad_perm:[1,2,3,0] row_mask:0xf bank_mask:0xf
	v_mov_b32_dpp v3, v4 quad_perm:[1,2,3,0] row_mask:0xf bank_mask:0xf
	v_and_b32_e32 v4, 3, v190
	v_mov_b32_dpp v5, v5 quad_perm:[1,2,3,0] row_mask:0xf bank_mask:0xf
	v_mov_b32_dpp v6, v6 quad_perm:[1,2,3,0] row_mask:0xf bank_mask:0xf
	scratch_store_b128 off, v[0:3], off offset:480
	v_lshlrev_b32_e32 v163, 3, v4
	v_xor_b32_e32 v4, 2, v4
	scratch_store_b128 off, v[5:8], off offset:496
	s_clause 0x1
	scratch_store_b64 v163, v[161:162], off offset:512
	scratch_store_b64 v163, v[159:160], off offset:544
	scratch_load_b64 v[159:160], off, off offset:16
	s_waitcnt vmcnt(0)
	s_clause 0x1
	scratch_store_b64 v163, v[159:160], off offset:576
	scratch_store_b64 v163, v[77:78], off offset:608
	scratch_load_b64 v[77:78], off, off offset:32
	s_waitcnt vmcnt(0)
	;; [unrolled: 5-line block ×7, first 2 shown]
	s_clause 0x1
	scratch_store_b64 v163, v[77:78], off offset:960
	scratch_store_b64 v163, v[157:158], off offset:992
	v_add_nc_u32_e32 v77, -1, v190
	s_delay_alu instid0(VALU_DEP_1) | instskip(NEXT) | instid1(VALU_DEP_1)
	v_and_b32_e32 v77, 3, v77
	v_lshlrev_b32_e32 v77, 3, v77
	s_clause 0xf
	scratch_store_b64 v77, v[73:74], off offset:512
	scratch_store_b64 v77, v[75:76], off offset:544
	;; [unrolled: 1-line block ×16, first 2 shown]
	v_lshlrev_b32_e32 v65, 3, v4
	v_add_nc_u32_e32 v4, 3, v4
	s_clause 0xf
	scratch_store_b64 v65, v[61:62], off offset:512
	scratch_store_b64 v65, v[63:64], off offset:544
	;; [unrolled: 1-line block ×16, first 2 shown]
	v_and_b32_e32 v33, 3, v4
	v_lshlrev_b32_e32 v4, 3, v4
	s_delay_alu instid0(VALU_DEP_2)
	v_lshlrev_b32_e32 v33, 3, v33
	scratch_store_b64 v33, v[29:30], off offset:512
	v_or_b32_e32 v29, 32, v4
	s_clause 0x1
	scratch_store_b64 v29, v[31:32], off offset:512
	scratch_store_b64 v33, v[25:26], off offset:576
	v_or_b32_e32 v25, 0x60, v4
	s_clause 0x1
	scratch_store_b64 v25, v[27:28], off offset:512
	;; [unrolled: 4-line block ×7, first 2 shown]
	scratch_store_b64 v33, v[5:6], off offset:960
	v_or_b32_e32 v0, 0x1e0, v4
	scratch_load_b128 v[69:72], off, off offset:904
	scratch_store_b64 v0, v[7:8], off offset:512
	s_clause 0x1
	scratch_load_b128 v[0:3], off, off offset:520
	scratch_load_b128 v[4:7], off, off offset:552
	s_waitcnt vmcnt(2)
	v_mov_b32_dpp v143, v69 quad_perm:[1,2,3,0] row_mask:0xf bank_mask:0xf
	v_mov_b32_dpp v144, v70 quad_perm:[1,2,3,0] row_mask:0xf bank_mask:0xf
	;; [unrolled: 1-line block ×4, first 2 shown]
	scratch_load_b128 v[69:72], off, off offset:936
	s_waitcnt vmcnt(2)
	v_mov_b32_dpp v65, v0 quad_perm:[1,2,3,0] row_mask:0xf bank_mask:0xf
	v_mov_b32_dpp v66, v1 quad_perm:[1,2,3,0] row_mask:0xf bank_mask:0xf
	scratch_load_b64 v[0:1], off, off offset:536
	v_mov_b32_dpp v67, v2 quad_perm:[2,3,0,1] row_mask:0xf bank_mask:0xf
	v_mov_b32_dpp v68, v3 quad_perm:[2,3,0,1] row_mask:0xf bank_mask:0xf
	s_waitcnt vmcnt(2)
	v_mov_b32_dpp v61, v4 quad_perm:[1,2,3,0] row_mask:0xf bank_mask:0xf
	v_mov_b32_dpp v62, v5 quad_perm:[1,2,3,0] row_mask:0xf bank_mask:0xf
	;; [unrolled: 1-line block ×4, first 2 shown]
	scratch_load_b128 v[4:7], off, off offset:584
	s_waitcnt vmcnt(2)
	v_mov_b32_dpp v139, v69 quad_perm:[1,2,3,0] row_mask:0xf bank_mask:0xf
	v_mov_b32_dpp v140, v70 quad_perm:[1,2,3,0] row_mask:0xf bank_mask:0xf
	;; [unrolled: 1-line block ×3, first 2 shown]
	s_waitcnt vmcnt(1)
	v_mov_b32_dpp v2, v0 quad_perm:[3,0,1,2] row_mask:0xf bank_mask:0xf
	v_mov_b32_dpp v3, v1 quad_perm:[3,0,1,2] row_mask:0xf bank_mask:0xf
	scratch_load_b64 v[0:1], off, off offset:568
	v_mov_b32_dpp v178, v72 quad_perm:[2,3,0,1] row_mask:0xf bank_mask:0xf
	scratch_load_b128 v[69:72], off, off offset:968
	s_clause 0x1
	scratch_store_b128 off, v[65:68], off offset:520
	scratch_store_b64 off, v[2:3], off offset:536
	s_waitcnt vmcnt(2)
	v_mov_b32_dpp v57, v4 quad_perm:[1,2,3,0] row_mask:0xf bank_mask:0xf
	v_mov_b32_dpp v58, v5 quad_perm:[1,2,3,0] row_mask:0xf bank_mask:0xf
	;; [unrolled: 1-line block ×4, first 2 shown]
	scratch_load_b128 v[4:7], off, off offset:616
	s_waitcnt vmcnt(2)
	v_mov_b32_dpp v35, v0 quad_perm:[3,0,1,2] row_mask:0xf bank_mask:0xf
	v_mov_b32_dpp v36, v1 quad_perm:[3,0,1,2] row_mask:0xf bank_mask:0xf
	scratch_load_b64 v[0:1], off, off offset:600
	scratch_store_b128 off, v[61:64], off offset:552
	s_waitcnt vmcnt(2)
	v_mov_b32_dpp v135, v69 quad_perm:[1,2,3,0] row_mask:0xf bank_mask:0xf
	v_mov_b32_dpp v136, v70 quad_perm:[1,2,3,0] row_mask:0xf bank_mask:0xf
	scratch_store_b64 off, v[35:36], off offset:568
	v_mov_b32_dpp v165, v71 quad_perm:[2,3,0,1] row_mask:0xf bank_mask:0xf
	v_mov_b32_dpp v166, v72 quad_perm:[2,3,0,1] row_mask:0xf bank_mask:0xf
	s_waitcnt vmcnt(1)
	v_mov_b32_dpp v49, v4 quad_perm:[1,2,3,0] row_mask:0xf bank_mask:0xf
	v_mov_b32_dpp v50, v5 quad_perm:[1,2,3,0] row_mask:0xf bank_mask:0xf
	;; [unrolled: 1-line block ×4, first 2 shown]
	s_clause 0x1
	scratch_load_b128 v[4:7], off, off offset:648
	scratch_load_b128 v[69:72], off, off offset:1000
	s_waitcnt vmcnt(2)
	v_mov_b32_dpp v47, v0 quad_perm:[3,0,1,2] row_mask:0xf bank_mask:0xf
	v_mov_b32_dpp v48, v1 quad_perm:[3,0,1,2] row_mask:0xf bank_mask:0xf
	scratch_load_b64 v[0:1], off, off offset:632
	s_clause 0x1
	scratch_store_b128 off, v[57:60], off offset:584
	scratch_store_b64 off, v[47:48], off offset:600
	s_waitcnt vmcnt(2)
	v_mov_b32_dpp v15, v4 quad_perm:[1,2,3,0] row_mask:0xf bank_mask:0xf
	v_mov_b32_dpp v16, v5 quad_perm:[1,2,3,0] row_mask:0xf bank_mask:0xf
	;; [unrolled: 1-line block ×4, first 2 shown]
	scratch_load_b128 v[4:7], off, off offset:680
	s_waitcnt vmcnt(2)
	v_mov_b32_dpp v131, v69 quad_perm:[1,2,3,0] row_mask:0xf bank_mask:0xf
	v_mov_b32_dpp v132, v70 quad_perm:[1,2,3,0] row_mask:0xf bank_mask:0xf
	;; [unrolled: 1-line block ×4, first 2 shown]
	s_waitcnt vmcnt(1)
	v_mov_b32_dpp v55, v0 quad_perm:[3,0,1,2] row_mask:0xf bank_mask:0xf
	v_mov_b32_dpp v56, v1 quad_perm:[3,0,1,2] row_mask:0xf bank_mask:0xf
	scratch_load_b64 v[0:1], off, off offset:664
	s_clause 0x1
	scratch_store_b128 off, v[49:52], off offset:616
	scratch_store_b64 off, v[55:56], off offset:632
	s_waitcnt vmcnt(1)
	v_mov_b32_dpp v187, v4 quad_perm:[1,2,3,0] row_mask:0xf bank_mask:0xf
	v_mov_b32_dpp v188, v5 quad_perm:[1,2,3,0] row_mask:0xf bank_mask:0xf
	v_mov_b32_dpp v37, v6 quad_perm:[2,3,0,1] row_mask:0xf bank_mask:0xf
	v_mov_b32_dpp v38, v7 quad_perm:[2,3,0,1] row_mask:0xf bank_mask:0xf
	scratch_load_b128 v[4:7], off, off offset:712
	s_waitcnt vmcnt(1)
	v_mov_b32_dpp v43, v0 quad_perm:[3,0,1,2] row_mask:0xf bank_mask:0xf
	v_mov_b32_dpp v44, v1 quad_perm:[3,0,1,2] row_mask:0xf bank_mask:0xf
	scratch_load_b64 v[0:1], off, off offset:696
	s_waitcnt vmcnt(1)
	v_mov_b32_dpp v175, v4 quad_perm:[1,2,3,0] row_mask:0xf bank_mask:0xf
	v_mov_b32_dpp v176, v5 quad_perm:[1,2,3,0] row_mask:0xf bank_mask:0xf
	v_mov_b32_dpp v29, v6 quad_perm:[2,3,0,1] row_mask:0xf bank_mask:0xf
	v_mov_b32_dpp v30, v7 quad_perm:[2,3,0,1] row_mask:0xf bank_mask:0xf
	scratch_load_b128 v[4:7], off, off offset:744
	s_waitcnt vmcnt(1)
	v_mov_b32_dpp v39, v0 quad_perm:[3,0,1,2] row_mask:0xf bank_mask:0xf
	v_mov_b32_dpp v40, v1 quad_perm:[3,0,1,2] row_mask:0xf bank_mask:0xf
	scratch_load_b64 v[0:1], off, off offset:728
	s_waitcnt vmcnt(1)
	v_mov_b32_dpp v171, v4 quad_perm:[1,2,3,0] row_mask:0xf bank_mask:0xf
	v_mov_b32_dpp v172, v5 quad_perm:[1,2,3,0] row_mask:0xf bank_mask:0xf
	v_mov_b32_dpp v25, v6 quad_perm:[2,3,0,1] row_mask:0xf bank_mask:0xf
	v_mov_b32_dpp v26, v7 quad_perm:[2,3,0,1] row_mask:0xf bank_mask:0xf
	scratch_load_b128 v[4:7], off, off offset:776
	s_waitcnt vmcnt(1)
	v_mov_b32_dpp v31, v0 quad_perm:[3,0,1,2] row_mask:0xf bank_mask:0xf
	v_mov_b32_dpp v32, v1 quad_perm:[3,0,1,2] row_mask:0xf bank_mask:0xf
	scratch_load_b64 v[0:1], off, off offset:760
	s_waitcnt vmcnt(1)
	v_mov_b32_dpp v159, v4 quad_perm:[1,2,3,0] row_mask:0xf bank_mask:0xf
	v_mov_b32_dpp v160, v5 quad_perm:[1,2,3,0] row_mask:0xf bank_mask:0xf
	v_mov_b32_dpp v21, v6 quad_perm:[2,3,0,1] row_mask:0xf bank_mask:0xf
	v_mov_b32_dpp v22, v7 quad_perm:[2,3,0,1] row_mask:0xf bank_mask:0xf
	scratch_load_b128 v[4:7], off, off offset:808
	s_waitcnt vmcnt(1)
	v_mov_b32_dpp v27, v0 quad_perm:[3,0,1,2] row_mask:0xf bank_mask:0xf
	v_mov_b32_dpp v28, v1 quad_perm:[3,0,1,2] row_mask:0xf bank_mask:0xf
	scratch_load_b64 v[0:1], off, off offset:792
	s_waitcnt vmcnt(1)
	v_mov_b32_dpp v155, v4 quad_perm:[1,2,3,0] row_mask:0xf bank_mask:0xf
	v_mov_b32_dpp v156, v5 quad_perm:[1,2,3,0] row_mask:0xf bank_mask:0xf
	v_mov_b32_dpp v17, v6 quad_perm:[2,3,0,1] row_mask:0xf bank_mask:0xf
	v_mov_b32_dpp v18, v7 quad_perm:[2,3,0,1] row_mask:0xf bank_mask:0xf
	scratch_load_b128 v[4:7], off, off offset:840
	s_waitcnt vmcnt(1)
	v_mov_b32_dpp v23, v0 quad_perm:[3,0,1,2] row_mask:0xf bank_mask:0xf
	v_mov_b32_dpp v24, v1 quad_perm:[3,0,1,2] row_mask:0xf bank_mask:0xf
	scratch_load_b64 v[0:1], off, off offset:824
	s_waitcnt vmcnt(1)
	v_mov_b32_dpp v151, v4 quad_perm:[1,2,3,0] row_mask:0xf bank_mask:0xf
	v_mov_b32_dpp v152, v5 quad_perm:[1,2,3,0] row_mask:0xf bank_mask:0xf
	v_mov_b32_dpp v9, v6 quad_perm:[2,3,0,1] row_mask:0xf bank_mask:0xf
	v_mov_b32_dpp v10, v7 quad_perm:[2,3,0,1] row_mask:0xf bank_mask:0xf
	scratch_load_b128 v[4:7], off, off offset:872
	s_waitcnt vmcnt(1)
	v_mov_b32_dpp v19, v0 quad_perm:[3,0,1,2] row_mask:0xf bank_mask:0xf
	v_mov_b32_dpp v20, v1 quad_perm:[3,0,1,2] row_mask:0xf bank_mask:0xf
	scratch_load_b64 v[0:1], off, off offset:856
	s_waitcnt vmcnt(1)
	v_mov_b32_dpp v148, v5 quad_perm:[1,2,3,0] row_mask:0xf bank_mask:0xf
	v_mov_b32_dpp v5, v6 quad_perm:[2,3,0,1] row_mask:0xf bank_mask:0xf
	;; [unrolled: 1-line block ×4, first 2 shown]
	s_waitcnt vmcnt(0)
	v_mov_b32_dpp v11, v0 quad_perm:[3,0,1,2] row_mask:0xf bank_mask:0xf
	v_mov_b32_dpp v12, v1 quad_perm:[3,0,1,2] row_mask:0xf bank_mask:0xf
	scratch_load_b64 v[0:1], off, off offset:888
	s_waitcnt vmcnt(0)
	v_mov_b32_dpp v7, v0 quad_perm:[3,0,1,2] row_mask:0xf bank_mask:0xf
	v_mov_b32_dpp v8, v1 quad_perm:[3,0,1,2] row_mask:0xf bank_mask:0xf
	scratch_load_b64 v[0:1], off, off offset:920
	;; [unrolled: 4-line block ×4, first 2 shown]
	s_waitcnt vmcnt(0)
	v_mov_b32_dpp v167, v0 quad_perm:[3,0,1,2] row_mask:0xf bank_mask:0xf
	v_mov_b32_dpp v168, v1 quad_perm:[3,0,1,2] row_mask:0xf bank_mask:0xf
	s_clause 0x10
	scratch_load_b64 v[0:1], off, off offset:1016
	scratch_load_b64 v[79:80], off, off offset:512
	scratch_load_b64 v[69:70], off, off offset:544
	scratch_load_b64 v[77:78], off, off offset:576
	scratch_load_b64 v[73:74], off, off offset:608
	scratch_load_b64 v[13:14], off, off offset:640
	scratch_load_b64 v[185:186], off, off offset:672
	scratch_load_b64 v[173:174], off, off offset:704
	scratch_load_b64 v[169:170], off, off offset:736
	scratch_load_b64 v[157:158], off, off offset:768
	scratch_load_b64 v[153:154], off, off offset:800
	scratch_load_b64 v[149:150], off, off offset:832
	scratch_load_b64 v[145:146], off, off offset:864
	scratch_load_b64 v[141:142], off, off offset:896
	scratch_load_b64 v[137:138], off, off offset:928
	scratch_load_b64 v[133:134], off, off offset:960
	scratch_load_b64 v[129:130], off, off offset:992
	s_waitcnt vmcnt(16)
	v_mov_b32_dpp v163, v0 quad_perm:[3,0,1,2] row_mask:0xf bank_mask:0xf
	v_mov_b32_dpp v164, v1 quad_perm:[3,0,1,2] row_mask:0xf bank_mask:0xf
	s_and_not1_b32 vcc_lo, exec_lo, s0
	s_cbranch_vccz .LBB1_3
	s_branch .LBB1_4
.LBB1_2:
                                        ; implicit-def: $vgpr163_vgpr164
                                        ; implicit-def: $vgpr131_vgpr132
                                        ; implicit-def: $vgpr167_vgpr168
                                        ; implicit-def: $vgpr135_vgpr136
                                        ; implicit-def: $vgpr179_vgpr180
                                        ; implicit-def: $vgpr139_vgpr140
                                        ; implicit-def: $vgpr183_vgpr184
                                        ; implicit-def: $vgpr143_vgpr144
                                        ; implicit-def: $vgpr7_vgpr8
                                        ; implicit-def: $vgpr147_vgpr148
                                        ; implicit-def: $vgpr11_vgpr12
                                        ; implicit-def: $vgpr151_vgpr152
                                        ; implicit-def: $vgpr19_vgpr20
                                        ; implicit-def: $vgpr155_vgpr156
                                        ; implicit-def: $vgpr23_vgpr24
                                        ; implicit-def: $vgpr159_vgpr160
                                        ; implicit-def: $vgpr27_vgpr28
                                        ; implicit-def: $vgpr171_vgpr172
                                        ; implicit-def: $vgpr31_vgpr32
                                        ; implicit-def: $vgpr175_vgpr176
                                        ; implicit-def: $vgpr39_vgpr40
                                        ; implicit-def: $vgpr187_vgpr188
                                        ; implicit-def: $vgpr43_vgpr44
                                        ; implicit-def: $vgpr15_vgpr16
                                        ; implicit-def: $vgpr55_vgpr56
                                        ; implicit-def: $vgpr51_vgpr52
                                        ; implicit-def: $vgpr73_vgpr74
                                        ; implicit-def: $vgpr47_vgpr48
                                        ; implicit-def: $vgpr59_vgpr60
                                        ; implicit-def: $vgpr77_vgpr78
                                        ; implicit-def: $vgpr35_vgpr36
                                        ; implicit-def: $vgpr63_vgpr64
                                        ; implicit-def: $vgpr69_vgpr70
                                        ; implicit-def: $vgpr2_vgpr3
                                        ; implicit-def: $vgpr67_vgpr68
                                        ; implicit-def: $vgpr79_vgpr80
.LBB1_3:
	s_clause 0xf
	scratch_load_b128 v[133:136], off, off offset:1088
	scratch_load_b128 v[73:76], off, off offset:1072
	;; [unrolled: 1-line block ×16, first 2 shown]
	v_lshlrev_b32_e32 v0, 2, v190
	v_bfe_u32 v28, v190, 2, 1
	s_waitcnt vmcnt(31)
	s_delay_alu instid0(VALU_DEP_2) | instskip(NEXT) | instid1(VALU_DEP_2)
	v_xor_b32_e32 v80, 16, v0
	v_lshlrev_b32_e32 v63, 3, v28
	ds_bpermute_b32 v0, v80, v125
	ds_bpermute_b32 v1, v80, v126
	;; [unrolled: 1-line block ×12, first 2 shown]
	v_or_b32_e32 v64, 0, v63
	ds_bpermute_b32 v10, v80, v115
	ds_bpermute_b32 v11, v80, v116
	;; [unrolled: 1-line block ×5, first 2 shown]
	s_waitcnt vmcnt(27)
	ds_bpermute_b32 v13, v80, v106
	ds_bpermute_b32 v20, v80, v109
	;; [unrolled: 1-line block ×25, first 2 shown]
	v_sub_nc_u32_e32 v63, 0, v63
	ds_bpermute_b32 v43, v80, v87
	ds_bpermute_b32 v44, v80, v88
	;; [unrolled: 1-line block ×6, first 2 shown]
	s_waitcnt vmcnt(15)
	scratch_store_b128 off, v[133:136], off
	s_waitcnt vmcnt(14)
	scratch_store_b128 off, v[73:76], off offset:16
	s_waitcnt vmcnt(13)
	scratch_store_b128 off, v[69:72], off offset:32
	;; [unrolled: 2-line block ×13, first 2 shown]
	s_waitcnt vmcnt(0)
	s_clause 0xd
	scratch_store_b128 off, v[177:180], off offset:208
	scratch_store_b128 off, v[165:168], off offset:240
	;; [unrolled: 1-line block ×14, first 2 shown]
	s_clause 0x3
	scratch_load_b128 v[49:52], off, off offset:1328
	scratch_load_b128 v[53:56], off, off offset:1312
	scratch_load_b128 v[57:60], off, off offset:1296
	scratch_load_b128 v[129:132], off, off offset:1024
	s_waitcnt vmcnt(3)
	scratch_store_b128 off, v[49:52], off offset:448
	s_waitcnt vmcnt(2)
	scratch_store_b128 off, v[53:56], off offset:464
	;; [unrolled: 2-line block ×4, first 2 shown]
	s_clause 0x1b
	scratch_store_b64 v64, v[133:134], off
	scratch_store_b64 v64, v[135:136], off offset:16
	scratch_store_b64 v64, v[73:74], off offset:32
	;; [unrolled: 1-line block ×27, first 2 shown]
	v_xor_b32_e32 v65, 1, v28
	v_xor_b32_e32 v66, 3, v28
	;; [unrolled: 1-line block ×3, first 2 shown]
	s_clause 0x3
	scratch_store_b64 v64, v[173:174], off offset:448
	scratch_store_b64 v64, v[175:176], off offset:464
	;; [unrolled: 1-line block ×4, first 2 shown]
	ds_bpermute_b32 v49, v80, v49
	v_lshl_or_b32 v64, v65, 3, 0
	v_lshlrev_b32_e32 v65, 3, v66
	v_lshlrev_b32_e32 v66, 3, v67
	v_xor_b32_e32 v67, 15, v28
	s_waitcnt lgkmcnt(47)
	scratch_store_b64 v64, v[0:1], off
	s_waitcnt lgkmcnt(45)
	scratch_store_b64 v65, v[2:3], off
	s_waitcnt lgkmcnt(43)
	scratch_store_b64 v63, v[4:5], off offset:40
	s_waitcnt lgkmcnt(41)
	scratch_store_b64 v66, v[6:7], off
	v_xor_b32_e32 v1, 31, v28
	ds_bpermute_b32 v50, v80, v50
	ds_bpermute_b32 v51, v80, v51
	;; [unrolled: 1-line block ×5, first 2 shown]
	v_lshlrev_b32_e32 v0, 3, v67
	ds_bpermute_b32 v55, v80, v55
	ds_bpermute_b32 v56, v80, v56
	;; [unrolled: 1-line block ×8, first 2 shown]
	s_waitcnt lgkmcnt(52)
	scratch_store_b64 v63, v[8:9], off offset:72
	s_waitcnt lgkmcnt(48)
	scratch_store_b64 v63, v[10:11], off offset:88
	;; [unrolled: 2-line block ×3, first 2 shown]
	s_waitcnt lgkmcnt(40)
	scratch_store_b64 v0, v[14:15], off
	v_lshlrev_b32_e32 v0, 3, v1
	s_clause 0x2
	scratch_store_b64 v63, v[16:17], off offset:136
	scratch_store_b64 v63, v[18:19], off offset:152
	;; [unrolled: 1-line block ×3, first 2 shown]
	s_waitcnt lgkmcnt(38)
	scratch_store_b64 v63, v[22:23], off offset:184
	s_waitcnt lgkmcnt(36)
	scratch_store_b64 v63, v[24:25], off offset:200
	;; [unrolled: 2-line block ×4, first 2 shown]
	s_waitcnt lgkmcnt(30)
	scratch_store_b64 v0, v[31:32], off
	s_waitcnt lgkmcnt(28)
	scratch_store_b64 v63, v[33:34], off offset:264
	s_waitcnt lgkmcnt(26)
	scratch_store_b64 v63, v[35:36], off offset:280
	;; [unrolled: 2-line block ×15, first 2 shown]
	s_clause 0x15
	scratch_load_b64 v[0:1], off, off offset:136
	scratch_load_b64 v[2:3], off, off offset:152
	scratch_load_b64 v[4:5], off, off offset:168
	scratch_load_b64 v[6:7], off, off offset:184
	scratch_load_b64 v[8:9], off, off offset:200
	scratch_load_b64 v[12:13], off, off offset:216
	scratch_load_b64 v[16:17], off, off offset:232
	scratch_load_b64 v[20:21], off, off offset:248
	scratch_load_b64 v[18:19], off, off offset:264
	scratch_load_b64 v[10:11], off, off offset:280
	scratch_load_b64 v[14:15], off, off offset:296
	scratch_load_b64 v[22:23], off, off offset:312
	scratch_load_b64 v[24:25], off, off offset:328
	scratch_load_b64 v[26:27], off, off offset:344
	scratch_load_b128 v[76:79], off, off offset:120
	scratch_load_b64 v[72:73], off, off offset:360
	scratch_load_b64 v[105:106], off, off offset:488
	;; [unrolled: 1-line block ×7, first 2 shown]
	s_waitcnt vmcnt(21)
	ds_bpermute_b32 v0, v80, v0
	ds_bpermute_b32 v1, v80, v1
	s_waitcnt lgkmcnt(0)
	scratch_store_b64 off, v[0:1], off offset:136
	s_waitcnt vmcnt(20)
	ds_bpermute_b32 v0, v80, v2
	ds_bpermute_b32 v1, v80, v3
	s_clause 0x1
	scratch_load_b64 v[2:3], off, off offset:376
	scratch_load_b128 v[68:71], off, off offset:136
	s_waitcnt lgkmcnt(0)
	scratch_store_b64 off, v[0:1], off offset:152
	scratch_load_b128 v[64:67], off, off offset:152
	s_waitcnt vmcnt(22)
	ds_bpermute_b32 v0, v80, v4
	ds_bpermute_b32 v1, v80, v5
	;; [unrolled: 1-line block ×4, first 2 shown]
	s_waitcnt lgkmcnt(2)
	scratch_store_b64 off, v[0:1], off offset:168
	s_waitcnt vmcnt(21)
	ds_bpermute_b32 v0, v80, v6
	ds_bpermute_b32 v1, v80, v7
	v_xor_b32_e32 v6, 63, v28
	scratch_load_b128 v[60:63], off, off offset:168
	v_lshlrev_b32_e32 v6, 3, v6
	s_waitcnt lgkmcnt(0)
	scratch_store_b64 off, v[0:1], off offset:184
	scratch_load_b128 v[56:59], off, off offset:184
	s_waitcnt vmcnt(22)
	ds_bpermute_b32 v0, v80, v8
	ds_bpermute_b32 v1, v80, v9
	scratch_load_b64 v[8:9], off, off offset:424
	s_waitcnt lgkmcnt(0)
	scratch_store_b64 off, v[0:1], off offset:200
	s_waitcnt vmcnt(22)
	ds_bpermute_b32 v0, v80, v12
	ds_bpermute_b32 v1, v80, v13
	scratch_load_b128 v[52:55], off, off offset:200
	s_waitcnt lgkmcnt(0)
	scratch_store_b64 off, v[0:1], off offset:216
	scratch_load_b128 v[44:47], off, off offset:216
	s_waitcnt vmcnt(23)
	ds_bpermute_b32 v0, v80, v16
	ds_bpermute_b32 v1, v80, v17
	s_waitcnt lgkmcnt(0)
	scratch_store_b64 off, v[0:1], off offset:232
	s_waitcnt vmcnt(22)
	ds_bpermute_b32 v0, v80, v20
	ds_bpermute_b32 v1, v80, v21
	scratch_load_b128 v[40:43], off, off offset:232
	s_waitcnt lgkmcnt(0)
	scratch_store_b64 off, v[0:1], off offset:248
	scratch_load_b128 v[36:39], off, off offset:248
	s_waitcnt vmcnt(23)
	ds_bpermute_b32 v0, v80, v18
	ds_bpermute_b32 v1, v80, v19
	scratch_store_b64 v6, v[4:5], off
	s_waitcnt lgkmcnt(0)
	scratch_store_b64 off, v[0:1], off offset:264
	scratch_load_b64 v[107:108], off, off offset:504
	s_waitcnt vmcnt(23)
	ds_bpermute_b32 v0, v80, v10
	ds_bpermute_b32 v1, v80, v11
	scratch_load_b128 v[48:51], off, off offset:264
	s_waitcnt lgkmcnt(0)
	scratch_store_b64 off, v[0:1], off offset:280
	scratch_load_b128 v[32:35], off, off offset:280
	s_waitcnt vmcnt(24)
	ds_bpermute_b32 v0, v80, v14
	ds_bpermute_b32 v1, v80, v15
	s_waitcnt lgkmcnt(0)
	scratch_store_b64 off, v[0:1], off offset:296
	s_waitcnt vmcnt(23)
	ds_bpermute_b32 v0, v80, v22
	ds_bpermute_b32 v1, v80, v23
	scratch_load_b128 v[28:31], off, off offset:296
	s_waitcnt lgkmcnt(0)
	scratch_store_b64 off, v[0:1], off offset:312
	scratch_load_b128 v[20:23], off, off offset:312
	s_waitcnt vmcnt(24)
	ds_bpermute_b32 v0, v80, v24
	ds_bpermute_b32 v1, v80, v25
	s_waitcnt lgkmcnt(0)
	scratch_store_b64 off, v[0:1], off offset:328
	s_waitcnt vmcnt(23)
	ds_bpermute_b32 v0, v80, v26
	ds_bpermute_b32 v1, v80, v27
	s_clause 0x7
	scratch_load_b128 v[12:15], off, off offset:328
	scratch_load_b64 v[109:110], off, off offset:8
	scratch_load_b64 v[111:112], off, off offset:24
	;; [unrolled: 1-line block ×7, first 2 shown]
	s_waitcnt lgkmcnt(0)
	scratch_store_b64 off, v[0:1], off offset:344
	s_waitcnt vmcnt(29)
	ds_bpermute_b32 v0, v80, v72
	ds_bpermute_b32 v1, v80, v73
	scratch_load_b128 v[16:19], off, off offset:344
	s_waitcnt lgkmcnt(0)
	scratch_store_b64 off, v[0:1], off offset:360
	s_clause 0x8
	scratch_load_b128 v[4:7], off, off offset:360
	scratch_load_b64 v[123:124], off, off offset:16
	scratch_load_b64 v[125:126], off, off
	scratch_load_b64 v[127:128], off, off offset:48
	scratch_load_b64 v[129:130], off, off offset:32
	;; [unrolled: 1-line block ×6, first 2 shown]
	s_waitcnt vmcnt(32)
	ds_bpermute_b32 v0, v80, v2
	ds_bpermute_b32 v1, v80, v3
	s_waitcnt lgkmcnt(0)
	scratch_store_b64 off, v[0:1], off offset:376
	ds_bpermute_b32 v0, v80, v74
	ds_bpermute_b32 v1, v80, v75
	scratch_load_b128 v[85:88], off, off offset:376
	s_waitcnt lgkmcnt(0)
	scratch_store_b64 off, v[0:1], off offset:392
	scratch_load_b128 v[89:92], off, off offset:392
	ds_bpermute_b32 v0, v80, v81
	ds_bpermute_b32 v1, v80, v82
	s_waitcnt vmcnt(24)
	ds_bpermute_b32 v81, v80, v107
	ds_bpermute_b32 v82, v80, v108
	s_waitcnt lgkmcnt(2)
	scratch_store_b64 off, v[0:1], off offset:408
	ds_bpermute_b32 v0, v80, v8
	ds_bpermute_b32 v1, v80, v9
	scratch_load_b128 v[93:96], off, off offset:408
	s_waitcnt lgkmcnt(2)
	scratch_store_b64 off, v[81:82], off offset:504
	scratch_load_b64 v[81:82], off, off offset:504
	s_waitcnt lgkmcnt(0)
	scratch_store_b64 off, v[0:1], off offset:424
	scratch_load_b128 v[97:100], off, off offset:424
	ds_bpermute_b32 v0, v80, v83
	ds_bpermute_b32 v1, v80, v84
	v_and_b32_e32 v83, 3, v190
	v_add_nc_u32_e32 v84, -1, v190
	s_delay_alu instid0(VALU_DEP_2) | instskip(NEXT) | instid1(VALU_DEP_2)
	v_lshlrev_b32_e32 v139, 3, v83
	v_and_b32_e32 v84, 3, v84
	s_delay_alu instid0(VALU_DEP_1)
	v_lshlrev_b32_e32 v140, 3, v84
	s_waitcnt lgkmcnt(0)
	scratch_store_b64 off, v[0:1], off offset:440
	ds_bpermute_b32 v0, v80, v101
	ds_bpermute_b32 v1, v80, v102
	scratch_load_b128 v[72:75], off, off offset:440
	v_xor_b32_e32 v101, 2, v83
	s_delay_alu instid0(VALU_DEP_1) | instskip(NEXT) | instid1(VALU_DEP_1)
	v_add_nc_u32_e32 v102, 3, v101
	v_and_b32_e32 v83, 3, v102
	v_lshlrev_b32_e32 v102, 3, v102
	s_delay_alu instid0(VALU_DEP_1)
	v_or_b32_e32 v141, 0x120, v102
	v_or_b32_e32 v84, 0x1a0, v102
	s_waitcnt lgkmcnt(0)
	scratch_store_b64 off, v[0:1], off offset:456
	scratch_load_b128 v[24:27], off, off offset:456
	ds_bpermute_b32 v0, v80, v103
	ds_bpermute_b32 v1, v80, v104
	s_waitcnt vmcnt(23)
	ds_bpermute_b32 v103, v80, v109
	ds_bpermute_b32 v104, v80, v110
	s_waitcnt vmcnt(21)
	ds_bpermute_b32 v107, v80, v113
	s_waitcnt lgkmcnt(3)
	scratch_store_b64 off, v[0:1], off offset:472
	ds_bpermute_b32 v0, v80, v105
	ds_bpermute_b32 v1, v80, v106
	scratch_load_b128 v[8:11], off, off offset:472
	ds_bpermute_b32 v105, v80, v111
	ds_bpermute_b32 v106, v80, v112
	;; [unrolled: 1-line block ×3, first 2 shown]
	s_waitcnt vmcnt(21)
	ds_bpermute_b32 v109, v80, v115
	ds_bpermute_b32 v110, v80, v116
	s_waitcnt vmcnt(20)
	ds_bpermute_b32 v111, v80, v117
	ds_bpermute_b32 v112, v80, v118
	;; [unrolled: 3-line block ×4, first 2 shown]
	ds_bpermute_b32 v117, v80, v76
	ds_bpermute_b32 v118, v80, v77
	v_lshlrev_b32_e32 v77, 3, v101
	v_lshlrev_b32_e32 v76, 3, v83
	v_or_b32_e32 v119, 32, v102
	v_or_b32_e32 v120, 0x60, v102
	;; [unrolled: 1-line block ×3, first 2 shown]
	s_waitcnt lgkmcnt(13)
	scratch_store_b64 off, v[0:1], off offset:488
	scratch_load_b128 v[0:3], off, off offset:488
	v_or_b32_e32 v122, 0xe0, v102
	v_or_b32_e32 v80, 0x160, v102
	;; [unrolled: 1-line block ×3, first 2 shown]
	v_mov_b32_dpp v101, v78 quad_perm:[3,0,1,2] row_mask:0xf bank_mask:0xf
	v_mov_b32_dpp v102, v79 quad_perm:[3,0,1,2] row_mask:0xf bank_mask:0xf
	scratch_store_b64 off, v[103:104], off offset:8
	s_waitcnt lgkmcnt(11)
	scratch_store_b64 off, v[105:106], off offset:24
	s_waitcnt lgkmcnt(10)
	;; [unrolled: 2-line block ×7, first 2 shown]
	scratch_store_b64 off, v[117:118], off offset:120
	s_waitcnt vmcnt(15)
	s_clause 0x3
	scratch_store_b64 v139, v[125:126], off offset:512
	scratch_store_b64 v139, v[103:104], off offset:544
	scratch_store_b64 v139, v[123:124], off offset:576
	scratch_store_b64 v139, v[105:106], off offset:608
	s_waitcnt vmcnt(13)
	s_clause 0x3
	scratch_store_b64 v139, v[129:130], off offset:640
	scratch_store_b64 v139, v[107:108], off offset:672
	scratch_store_b64 v139, v[127:128], off offset:704
	scratch_store_b64 v139, v[109:110], off offset:736
	;; [unrolled: 6-line block ×3, first 2 shown]
	v_mov_b32_dpp v103, v68 quad_perm:[3,0,1,2] row_mask:0xf bank_mask:0xf
	v_mov_b32_dpp v104, v69 quad_perm:[3,0,1,2] row_mask:0xf bank_mask:0xf
	;; [unrolled: 1-line block ×46, first 2 shown]
	s_waitcnt vmcnt(9)
	s_clause 0x3
	scratch_store_b64 v139, v[137:138], off offset:896
	scratch_store_b64 v139, v[115:116], off offset:928
	scratch_store_b64 v139, v[135:136], off offset:960
	scratch_store_b64 v139, v[117:118], off offset:992
	s_clause 0x1
	scratch_store_b128 off, v[101:104], off offset:128
	scratch_store_b128 off, v[68:71], off offset:144
	s_clause 0x3
	scratch_store_b64 v140, v[101:102], off offset:512
	scratch_store_b64 v140, v[103:104], off offset:544
	scratch_store_b64 v140, v[68:69], off offset:576
	scratch_store_b64 v140, v[70:71], off offset:608
	s_clause 0x1
	scratch_store_b128 off, v[64:67], off offset:160
	scratch_store_b128 off, v[60:63], off offset:176
	;; [unrolled: 8-line block ×6, first 2 shown]
	s_clause 0x3
	scratch_store_b64 v77, v[32:33], off offset:640
	scratch_store_b64 v77, v[34:35], off offset:672
	;; [unrolled: 1-line block ×4, first 2 shown]
	s_waitcnt vmcnt(8)
	v_mov_b32_dpp v32, v87 quad_perm:[1,2,3,0] row_mask:0xf bank_mask:0xf
	v_mov_b32_dpp v33, v88 quad_perm:[1,2,3,0] row_mask:0xf bank_mask:0xf
	;; [unrolled: 1-line block ×10, first 2 shown]
	scratch_store_b64 v76, v[32:33], off offset:512
	v_mov_b32_dpp v40, v18 quad_perm:[2,3,0,1] row_mask:0xf bank_mask:0xf
	scratch_load_b128 v[15:18], off, off offset:520
	s_clause 0x1
	scratch_store_b128 off, v[36:39], off offset:320
	scratch_store_b128 off, v[28:31], off offset:336
	v_mov_b32_dpp v41, v19 quad_perm:[2,3,0,1] row_mask:0xf bank_mask:0xf
	s_waitcnt vmcnt(8)
	v_mov_b32_dpp v19, v91 quad_perm:[1,2,3,0] row_mask:0xf bank_mask:0xf
	v_mov_b32_dpp v20, v92 quad_perm:[1,2,3,0] row_mask:0xf bank_mask:0xf
	;; [unrolled: 1-line block ×4, first 2 shown]
	scratch_load_b64 v[61:62], off, off offset:536
	s_clause 0x3
	scratch_store_b64 v77, v[36:37], off offset:768
	scratch_store_b64 v77, v[38:39], off offset:800
	;; [unrolled: 1-line block ×4, first 2 shown]
	v_mov_b32_dpp v42, v4 quad_perm:[2,3,0,1] row_mask:0xf bank_mask:0xf
	v_mov_b32_dpp v43, v5 quad_perm:[2,3,0,1] row_mask:0xf bank_mask:0xf
	;; [unrolled: 1-line block ×6, first 2 shown]
	s_waitcnt vmcnt(8)
	v_mov_b32_dpp v21, v93 quad_perm:[1,2,3,0] row_mask:0xf bank_mask:0xf
	v_mov_b32_dpp v22, v94 quad_perm:[1,2,3,0] row_mask:0xf bank_mask:0xf
	;; [unrolled: 1-line block ×4, first 2 shown]
	s_clause 0x2
	scratch_store_b64 v119, v[34:35], off offset:512
	scratch_store_b64 v76, v[19:20], off offset:576
	;; [unrolled: 1-line block ×3, first 2 shown]
	s_clause 0x5
	scratch_load_b128 v[28:31], off, off offset:552
	scratch_load_b64 v[127:128], off, off offset:568
	scratch_load_b128 v[44:47], off, off offset:584
	scratch_load_b64 v[131:132], off, off offset:600
	;; [unrolled: 2-line block ×3, first 2 shown]
	s_waitcnt vmcnt(12)
	v_mov_b32_dpp v53, v99 quad_perm:[1,2,3,0] row_mask:0xf bank_mask:0xf
	v_mov_b32_dpp v54, v100 quad_perm:[1,2,3,0] row_mask:0xf bank_mask:0xf
	;; [unrolled: 1-line block ×4, first 2 shown]
	s_clause 0x2
	scratch_store_b64 v76, v[36:37], off offset:640
	scratch_store_b64 v77, v[40:41], off offset:896
	;; [unrolled: 1-line block ×3, first 2 shown]
	s_clause 0x2
	scratch_load_b128 v[87:90], off, off offset:648
	scratch_load_b64 v[85:86], off, off offset:664
	scratch_load_b128 v[91:94], off, off offset:712
	s_clause 0x1
	scratch_store_b128 off, v[40:43], off offset:352
	scratch_store_b128 off, v[4:7], off offset:368
	scratch_load_b64 v[139:140], off, off offset:728
	s_waitcnt vmcnt(15)
	v_mov_b32_dpp v55, v72 quad_perm:[1,2,3,0] row_mask:0xf bank_mask:0xf
	v_mov_b32_dpp v56, v73 quad_perm:[1,2,3,0] row_mask:0xf bank_mask:0xf
	;; [unrolled: 1-line block ×4, first 2 shown]
	scratch_store_b64 v121, v[38:39], off offset:512
	s_clause 0x1
	scratch_load_b128 v[95:98], off, off offset:680
	scratch_load_b64 v[71:72], off, off offset:696
	scratch_store_b64 v122, v[55:56], off offset:512
	s_clause 0x1
	scratch_load_b128 v[99:102], off, off offset:744
	scratch_load_b64 v[143:144], off, off offset:760
	;; [unrolled: 4-line block ×3, first 2 shown]
	s_waitcnt vmcnt(20)
	v_mov_b32_dpp v59, v24 quad_perm:[1,2,3,0] row_mask:0xf bank_mask:0xf
	v_mov_b32_dpp v60, v25 quad_perm:[1,2,3,0] row_mask:0xf bank_mask:0xf
	;; [unrolled: 1-line block ×4, first 2 shown]
	scratch_store_b64 v141, v[59:60], off offset:512
	scratch_load_b128 v[107:110], off, off offset:808
	scratch_store_b64 v76, v[23:24], off offset:832
	s_clause 0x1
	scratch_load_b64 v[151:152], off, off offset:824
	scratch_load_b128 v[111:114], off, off offset:840
	s_clause 0x2
	scratch_store_b64 v77, v[42:43], off offset:928
	scratch_store_b64 v77, v[4:5], off offset:960
	;; [unrolled: 1-line block ×3, first 2 shown]
	scratch_load_b64 v[161:162], off, off offset:856
	v_mov_b32_dpp v42, v81 quad_perm:[1,2,3,0] row_mask:0xf bank_mask:0xf
	v_mov_b32_dpp v43, v82 quad_perm:[1,2,3,0] row_mask:0xf bank_mask:0xf
	s_waitcnt vmcnt(23)
	v_mov_b32_dpp v25, v8 quad_perm:[1,2,3,0] row_mask:0xf bank_mask:0xf
	v_mov_b32_dpp v26, v9 quad_perm:[1,2,3,0] row_mask:0xf bank_mask:0xf
	;; [unrolled: 1-line block ×4, first 2 shown]
	scratch_store_b64 v80, v[25:26], off offset:512
	s_clause 0x1
	scratch_load_b128 v[4:7], off, off offset:872
	scratch_load_b64 v[79:80], off, off offset:512
	scratch_store_b64 v76, v[8:9], off offset:896
	scratch_store_b128 off, v[32:35], off offset:384
	scratch_load_b128 v[115:118], off, off offset:904
	s_waitcnt vmcnt(25)
	v_mov_b32_dpp v40, v2 quad_perm:[1,2,3,0] row_mask:0xf bank_mask:0xf
	v_mov_b32_dpp v41, v3 quad_perm:[1,2,3,0] row_mask:0xf bank_mask:0xf
	;; [unrolled: 1-line block ×4, first 2 shown]
	s_clause 0x3
	scratch_load_b64 v[0:1], off, off offset:888
	scratch_load_b64 v[69:70], off, off offset:544
	;; [unrolled: 1-line block ×4, first 2 shown]
	scratch_store_b64 v76, v[40:41], off offset:960
	s_clause 0x2
	scratch_load_b128 v[119:122], off, off offset:968
	scratch_load_b64 v[73:74], off, off offset:608
	scratch_load_b64 v[75:76], off, off offset:984
	scratch_store_b64 v84, v[10:11], off offset:512
	s_clause 0x4
	scratch_load_b128 v[123:126], off, off offset:936
	scratch_load_b64 v[13:14], off, off offset:640
	scratch_load_b64 v[173:174], off, off offset:704
	;; [unrolled: 1-line block ×4, first 2 shown]
	scratch_store_b64 v83, v[42:43], off offset:512
	s_clause 0xa
	scratch_load_b128 v[81:84], off, off offset:1000
	scratch_load_b64 v[169:170], off, off offset:736
	scratch_load_b64 v[157:158], off, off offset:768
	;; [unrolled: 1-line block ×10, first 2 shown]
	s_clause 0x2
	scratch_store_b128 off, v[19:22], off offset:400
	scratch_store_b128 off, v[36:39], off offset:416
	;; [unrolled: 1-line block ×3, first 2 shown]
	s_waitcnt vmcnt(47)
	v_mov_b32_dpp v65, v15 quad_perm:[1,2,3,0] row_mask:0xf bank_mask:0xf
	v_mov_b32_dpp v66, v16 quad_perm:[1,2,3,0] row_mask:0xf bank_mask:0xf
	v_mov_b32_dpp v67, v17 quad_perm:[2,3,0,1] row_mask:0xf bank_mask:0xf
	v_mov_b32_dpp v68, v18 quad_perm:[2,3,0,1] row_mask:0xf bank_mask:0xf
	s_waitcnt vmcnt(46)
	v_mov_b32_dpp v2, v61 quad_perm:[3,0,1,2] row_mask:0xf bank_mask:0xf
	v_mov_b32_dpp v3, v62 quad_perm:[3,0,1,2] row_mask:0xf bank_mask:0xf
	s_clause 0x5
	scratch_store_b128 off, v[57:60], off offset:448
	scratch_store_b128 off, v[23:26], off offset:464
	;; [unrolled: 1-line block ×5, first 2 shown]
	scratch_store_b64 off, v[2:3], off offset:536
	s_waitcnt vmcnt(45)
	v_mov_b32_dpp v61, v28 quad_perm:[1,2,3,0] row_mask:0xf bank_mask:0xf
	v_mov_b32_dpp v62, v29 quad_perm:[1,2,3,0] row_mask:0xf bank_mask:0xf
	v_mov_b32_dpp v63, v30 quad_perm:[2,3,0,1] row_mask:0xf bank_mask:0xf
	v_mov_b32_dpp v64, v31 quad_perm:[2,3,0,1] row_mask:0xf bank_mask:0xf
	s_waitcnt vmcnt(44)
	v_mov_b32_dpp v35, v127 quad_perm:[3,0,1,2] row_mask:0xf bank_mask:0xf
	v_mov_b32_dpp v36, v128 quad_perm:[3,0,1,2] row_mask:0xf bank_mask:0xf
	s_waitcnt vmcnt(43)
	v_mov_b32_dpp v57, v44 quad_perm:[1,2,3,0] row_mask:0xf bank_mask:0xf
	v_mov_b32_dpp v58, v45 quad_perm:[1,2,3,0] row_mask:0xf bank_mask:0xf
	v_mov_b32_dpp v59, v46 quad_perm:[2,3,0,1] row_mask:0xf bank_mask:0xf
	v_mov_b32_dpp v60, v47 quad_perm:[2,3,0,1] row_mask:0xf bank_mask:0xf
	s_waitcnt vmcnt(42)
	v_mov_b32_dpp v47, v131 quad_perm:[3,0,1,2] row_mask:0xf bank_mask:0xf
	v_mov_b32_dpp v48, v132 quad_perm:[3,0,1,2] row_mask:0xf bank_mask:0xf
	;; [unrolled: 8-line block ×3, first 2 shown]
	s_clause 0x5
	scratch_store_b128 off, v[61:64], off offset:552
	scratch_store_b64 off, v[35:36], off offset:568
	scratch_store_b128 off, v[57:60], off offset:584
	scratch_store_b64 off, v[47:48], off offset:600
	;; [unrolled: 2-line block ×3, first 2 shown]
	s_waitcnt vmcnt(39)
	v_mov_b32_dpp v15, v87 quad_perm:[1,2,3,0] row_mask:0xf bank_mask:0xf
	v_mov_b32_dpp v16, v88 quad_perm:[1,2,3,0] row_mask:0xf bank_mask:0xf
	v_mov_b32_dpp v41, v89 quad_perm:[2,3,0,1] row_mask:0xf bank_mask:0xf
	v_mov_b32_dpp v42, v90 quad_perm:[2,3,0,1] row_mask:0xf bank_mask:0xf
	s_waitcnt vmcnt(38)
	v_mov_b32_dpp v43, v85 quad_perm:[3,0,1,2] row_mask:0xf bank_mask:0xf
	v_mov_b32_dpp v44, v86 quad_perm:[3,0,1,2] row_mask:0xf bank_mask:0xf
	s_waitcnt vmcnt(37)
	v_mov_b32_dpp v175, v91 quad_perm:[1,2,3,0] row_mask:0xf bank_mask:0xf
	v_mov_b32_dpp v176, v92 quad_perm:[1,2,3,0] row_mask:0xf bank_mask:0xf
	v_mov_b32_dpp v29, v93 quad_perm:[2,3,0,1] row_mask:0xf bank_mask:0xf
	v_mov_b32_dpp v30, v94 quad_perm:[2,3,0,1] row_mask:0xf bank_mask:0xf
	s_waitcnt vmcnt(36)
	v_mov_b32_dpp v31, v139 quad_perm:[3,0,1,2] row_mask:0xf bank_mask:0xf
	v_mov_b32_dpp v32, v140 quad_perm:[3,0,1,2] row_mask:0xf bank_mask:0xf
	;; [unrolled: 8-line block ×8, first 2 shown]
	v_mov_b32_dpp v181, v117 quad_perm:[2,3,0,1] row_mask:0xf bank_mask:0xf
	v_mov_b32_dpp v182, v118 quad_perm:[2,3,0,1] row_mask:0xf bank_mask:0xf
	s_waitcnt vmcnt(10)
	v_mov_b32_dpp v131, v81 quad_perm:[1,2,3,0] row_mask:0xf bank_mask:0xf
	v_mov_b32_dpp v132, v82 quad_perm:[1,2,3,0] row_mask:0xf bank_mask:0xf
	;; [unrolled: 1-line block ×20, first 2 shown]
	s_waitcnt vmcnt(6)
	v_mov_b32_dpp v163, v190 quad_perm:[3,0,1,2] row_mask:0xf bank_mask:0xf
	v_mov_b32_dpp v164, v191 quad_perm:[3,0,1,2] row_mask:0xf bank_mask:0xf
.LBB1_4:
	v_dual_mov_b32 v81, v65 :: v_dual_lshlrev_b32 v4, 3, v189
	v_dual_mov_b32 v82, v66 :: v_dual_mov_b32 v1, v68
	v_dual_mov_b32 v0, v67 :: v_dual_mov_b32 v71, v61
	;; [unrolled: 1-line block ×3, first 2 shown]
	v_mov_b32_e32 v34, v64
	s_waitcnt vmcnt(15)
	s_clause 0x1
	global_store_b128 v4, v[79:82], s[6:7]
	global_store_b128 v4, v[0:3], s[6:7] offset:16
	v_dual_mov_b32 v79, v57 :: v_dual_mov_b32 v80, v58
	v_dual_mov_b32 v45, v59 :: v_dual_mov_b32 v46, v60
	;; [unrolled: 1-line block ×4, first 2 shown]
	s_waitcnt vmcnt(14)
	s_clause 0x1
	global_store_b128 v4, v[69:72], s[6:7] offset:32
	global_store_b128 v4, v[33:36], s[6:7] offset:48
	s_waitcnt vmcnt(13)
	s_clause 0x1
	global_store_b128 v4, v[77:80], s[6:7] offset:64
	global_store_b128 v4, v[45:48], s[6:7] offset:80
	;; [unrolled: 4-line block ×13, first 2 shown]
	global_store_b128 v4, v[133:136], s[6:7] offset:448
	global_store_b128 v4, v[165:168], s[6:7] offset:464
	s_waitcnt vmcnt(0)
	s_clause 0x1
	global_store_b128 v4, v[129:132], s[6:7] offset:480
	global_store_b128 v4, v[161:164], s[6:7] offset:496
	s_endpgm
	.section	.rodata,"a",@progbits
	.p2align	6, 0x0
	.amdhsa_kernel _Z20warp_exchange_kernelILj64ELj8EN6common25StripedToBlockedShuffleOpElEvPT2_S3_b
		.amdhsa_group_segment_fixed_size 0
		.amdhsa_private_segment_fixed_size 1360
		.amdhsa_kernarg_size 20
		.amdhsa_user_sgpr_count 15
		.amdhsa_user_sgpr_dispatch_ptr 0
		.amdhsa_user_sgpr_queue_ptr 0
		.amdhsa_user_sgpr_kernarg_segment_ptr 1
		.amdhsa_user_sgpr_dispatch_id 0
		.amdhsa_user_sgpr_private_segment_size 0
		.amdhsa_wavefront_size32 1
		.amdhsa_uses_dynamic_stack 0
		.amdhsa_enable_private_segment 1
		.amdhsa_system_sgpr_workgroup_id_x 1
		.amdhsa_system_sgpr_workgroup_id_y 0
		.amdhsa_system_sgpr_workgroup_id_z 0
		.amdhsa_system_sgpr_workgroup_info 0
		.amdhsa_system_vgpr_workitem_id 0
		.amdhsa_next_free_vgpr 192
		.amdhsa_next_free_sgpr 8
		.amdhsa_reserve_vcc 1
		.amdhsa_float_round_mode_32 0
		.amdhsa_float_round_mode_16_64 0
		.amdhsa_float_denorm_mode_32 3
		.amdhsa_float_denorm_mode_16_64 3
		.amdhsa_dx10_clamp 1
		.amdhsa_ieee_mode 1
		.amdhsa_fp16_overflow 0
		.amdhsa_workgroup_processor_mode 1
		.amdhsa_memory_ordered 1
		.amdhsa_forward_progress 0
		.amdhsa_shared_vgpr_count 0
		.amdhsa_exception_fp_ieee_invalid_op 0
		.amdhsa_exception_fp_denorm_src 0
		.amdhsa_exception_fp_ieee_div_zero 0
		.amdhsa_exception_fp_ieee_overflow 0
		.amdhsa_exception_fp_ieee_underflow 0
		.amdhsa_exception_fp_ieee_inexact 0
		.amdhsa_exception_int_div_zero 0
	.end_amdhsa_kernel
	.section	.text._Z20warp_exchange_kernelILj64ELj8EN6common25StripedToBlockedShuffleOpElEvPT2_S3_b,"axG",@progbits,_Z20warp_exchange_kernelILj64ELj8EN6common25StripedToBlockedShuffleOpElEvPT2_S3_b,comdat
.Lfunc_end1:
	.size	_Z20warp_exchange_kernelILj64ELj8EN6common25StripedToBlockedShuffleOpElEvPT2_S3_b, .Lfunc_end1-_Z20warp_exchange_kernelILj64ELj8EN6common25StripedToBlockedShuffleOpElEvPT2_S3_b
                                        ; -- End function
	.section	.AMDGPU.csdata,"",@progbits
; Kernel info:
; codeLenInByte = 13528
; NumSgprs: 10
; NumVgprs: 192
; ScratchSize: 1360
; MemoryBound: 1
; FloatMode: 240
; IeeeMode: 1
; LDSByteSize: 0 bytes/workgroup (compile time only)
; SGPRBlocks: 1
; VGPRBlocks: 23
; NumSGPRsForWavesPerEU: 10
; NumVGPRsForWavesPerEU: 192
; Occupancy: 8
; WaveLimiterHint : 1
; COMPUTE_PGM_RSRC2:SCRATCH_EN: 1
; COMPUTE_PGM_RSRC2:USER_SGPR: 15
; COMPUTE_PGM_RSRC2:TRAP_HANDLER: 0
; COMPUTE_PGM_RSRC2:TGID_X_EN: 1
; COMPUTE_PGM_RSRC2:TGID_Y_EN: 0
; COMPUTE_PGM_RSRC2:TGID_Z_EN: 0
; COMPUTE_PGM_RSRC2:TIDIG_COMP_CNT: 0
	.section	.text._Z20warp_exchange_kernelILj32ELj8EN6common25StripedToBlockedShuffleOpEiEvPT2_S3_b,"axG",@progbits,_Z20warp_exchange_kernelILj32ELj8EN6common25StripedToBlockedShuffleOpEiEvPT2_S3_b,comdat
	.protected	_Z20warp_exchange_kernelILj32ELj8EN6common25StripedToBlockedShuffleOpEiEvPT2_S3_b ; -- Begin function _Z20warp_exchange_kernelILj32ELj8EN6common25StripedToBlockedShuffleOpEiEvPT2_S3_b
	.globl	_Z20warp_exchange_kernelILj32ELj8EN6common25StripedToBlockedShuffleOpEiEvPT2_S3_b
	.p2align	8
	.type	_Z20warp_exchange_kernelILj32ELj8EN6common25StripedToBlockedShuffleOpEiEvPT2_S3_b,@function
_Z20warp_exchange_kernelILj32ELj8EN6common25StripedToBlockedShuffleOpEiEvPT2_S3_b: ; @_Z20warp_exchange_kernelILj32ELj8EN6common25StripedToBlockedShuffleOpEiEvPT2_S3_b
; %bb.0:
	s_load_b128 s[4:7], s[0:1], 0x0
	v_lshlrev_b32_e32 v17, 7, v0
	s_load_b32 s0, s[0:1], 0x10
	v_lshlrev_b32_e32 v0, 5, v0
	v_mbcnt_lo_u32_b32 v65, -1, 0
	s_waitcnt lgkmcnt(0)
	s_clause 0x7
	global_load_b128 v[13:16], v17, s[4:5]
	global_load_b128 v[9:12], v17, s[4:5] offset:16
	global_load_b128 v[5:8], v17, s[4:5] offset:32
	;; [unrolled: 1-line block ×7, first 2 shown]
	s_bitcmp0_b32 s0, 0
	s_mov_b32 s0, 0
	s_cbranch_scc0 .LBB2_2
; %bb.1:
	v_lshlrev_b32_e32 v33, 2, v65
	v_bfe_u32 v37, v65, 2, 1
	s_waitcnt vmcnt(7)
	scratch_store_b128 off, v[13:16], off
	s_waitcnt vmcnt(6)
	scratch_store_b128 off, v[9:12], off offset:16
	s_waitcnt vmcnt(4)
	scratch_store_b128 off, v[1:4], off offset:48
	;; [unrolled: 2-line block ×5, first 2 shown]
	v_xor_b32_e32 v66, 16, v33
	v_lshlrev_b32_e32 v34, 2, v37
	v_xor_b32_e32 v35, 1, v37
	s_waitcnt vmcnt(0)
	scratch_store_b128 off, v[17:20], off offset:112
	v_xor_b32_e32 v51, 7, v37
	ds_bpermute_b32 v33, v66, v29
	ds_bpermute_b32 v40, v66, v32
	;; [unrolled: 1-line block ×5, first 2 shown]
	v_or_b32_e32 v46, 0, v34
	ds_bpermute_b32 v44, v66, v28
	ds_bpermute_b32 v45, v66, v21
	v_lshl_or_b32 v35, v35, 2, 0
	ds_bpermute_b32 v47, v66, v22
	ds_bpermute_b32 v38, v66, v30
	;; [unrolled: 1-line block ×7, first 2 shown]
	v_xor_b32_e32 v36, 3, v37
	v_xor_b32_e32 v52, 15, v37
	s_clause 0x1
	scratch_store_b32 v46, v13, off
	scratch_store_b32 v46, v14, off offset:8
	s_waitcnt lgkmcnt(13)
	scratch_store_b32 v35, v33, off
	scratch_store_b128 off, v[5:8], off offset:32
	ds_bpermute_b32 v33, v66, v24
	ds_bpermute_b32 v35, v66, v17
	v_lshlrev_b32_e32 v51, 2, v51
	v_sub_nc_u32_e32 v34, 0, v34
	v_lshl_or_b32 v36, v36, 2, 0
	s_clause 0xd
	scratch_store_b32 v46, v15, off offset:16
	scratch_store_b32 v46, v16, off offset:24
	;; [unrolled: 1-line block ×14, first 2 shown]
	s_waitcnt lgkmcnt(7)
	scratch_store_b32 v36, v38, off
	s_waitcnt lgkmcnt(5)
	scratch_store_b32 v34, v39, off offset:20
	v_lshlrev_b32_e32 v36, 2, v52
	v_and_b32_e32 v67, 3, v65
	v_add_nc_u32_e32 v69, -1, v65
	s_clause 0x7
	scratch_store_b32 v51, v40, off
	scratch_store_b32 v34, v41, off offset:36
	scratch_store_b32 v34, v42, off offset:44
	;; [unrolled: 1-line block ×3, first 2 shown]
	scratch_store_b32 v36, v44, off
	scratch_store_b32 v34, v45, off offset:68
	scratch_store_b32 v34, v47, off offset:76
	;; [unrolled: 1-line block ×3, first 2 shown]
	s_waitcnt lgkmcnt(1)
	scratch_store_b32 v34, v33, off offset:92
	s_waitcnt lgkmcnt(0)
	s_clause 0x2
	scratch_store_b32 v34, v35, off offset:100
	scratch_store_b32 v34, v49, off offset:108
	;; [unrolled: 1-line block ×3, first 2 shown]
	v_xor_b32_e32 v49, 31, v37
	s_clause 0x3
	scratch_load_b128 v[33:36], off, off
	scratch_load_b128 v[37:40], off, off offset:16
	scratch_load_b128 v[41:44], off, off offset:32
	;; [unrolled: 1-line block ×3, first 2 shown]
	v_xor_b32_e32 v68, 2, v67
	v_and_b32_e32 v69, 3, v69
	v_lshlrev_b32_e32 v62, 2, v49
	s_clause 0x2
	scratch_load_b128 v[49:52], off, off offset:64
	scratch_load_b128 v[53:56], off, off offset:80
	;; [unrolled: 1-line block ×3, first 2 shown]
	v_lshl_or_b32 v67, v67, 2, 0x80
	v_add_nc_u32_e32 v70, 3, v68
	v_lshl_or_b32 v69, v69, 2, 0x80
	scratch_store_b32 v62, v61, off
	scratch_load_b128 v[61:64], off, off offset:112
	v_lshl_or_b32 v68, v68, 2, 0x80
	v_and_b32_e32 v71, 3, v70
	v_lshlrev_b32_e32 v70, 2, v70
	s_delay_alu instid0(VALU_DEP_2) | instskip(NEXT) | instid1(VALU_DEP_2)
	v_lshl_or_b32 v71, v71, 2, 0x80
	v_or_b32_e32 v72, 16, v70
	v_or_b32_e32 v73, 48, v70
	s_waitcnt vmcnt(6)
	ds_bpermute_b32 v38, v66, v38
	s_waitcnt vmcnt(5)
	ds_bpermute_b32 v42, v66, v42
	ds_bpermute_b32 v44, v66, v44
	s_waitcnt vmcnt(4)
	ds_bpermute_b32 v46, v66, v46
	;; [unrolled: 3-line block ×3, first 2 shown]
	s_waitcnt vmcnt(1)
	ds_bpermute_b32 v58, v66, v58
	ds_bpermute_b32 v50, v66, v50
	;; [unrolled: 1-line block ×6, first 2 shown]
	s_waitcnt vmcnt(0)
	ds_bpermute_b32 v62, v66, v62
	ds_bpermute_b32 v64, v66, v64
	ds_bpermute_b32 v36, v66, v36
	ds_bpermute_b32 v40, v66, v40
	v_mov_b32_dpp v61, v61 quad_perm:[1,2,3,0] row_mask:0xf bank_mask:0xf
	v_mov_b32_dpp v41, v41 quad_perm:[3,0,1,2] row_mask:0xf bank_mask:0xf
	;; [unrolled: 1-line block ×9, first 2 shown]
	s_waitcnt lgkmcnt(10)
	v_mov_b32_dpp v54, v54 quad_perm:[2,3,0,1] row_mask:0xf bank_mask:0xf
	s_waitcnt lgkmcnt(9)
	v_mov_b32_dpp v58, v58 quad_perm:[1,2,3,0] row_mask:0xf bank_mask:0xf
	v_mov_b32_dpp v57, v57 quad_perm:[1,2,3,0] row_mask:0xf bank_mask:0xf
	v_mov_b32_dpp v59, v59 quad_perm:[1,2,3,0] row_mask:0xf bank_mask:0xf
	v_mov_b32_dpp v42, v42 quad_perm:[3,0,1,2] row_mask:0xf bank_mask:0xf
	v_mov_b32_dpp v44, v44 quad_perm:[3,0,1,2] row_mask:0xf bank_mask:0xf
	v_mov_b32_dpp v46, v46 quad_perm:[3,0,1,2] row_mask:0xf bank_mask:0xf
	v_mov_b32_dpp v48, v48 quad_perm:[3,0,1,2] row_mask:0xf bank_mask:0xf
	s_waitcnt lgkmcnt(8)
	v_mov_b32_dpp v50, v50 quad_perm:[2,3,0,1] row_mask:0xf bank_mask:0xf
	s_waitcnt lgkmcnt(7)
	v_mov_b32_dpp v52, v52 quad_perm:[2,3,0,1] row_mask:0xf bank_mask:0xf
	;; [unrolled: 2-line block ×3, first 2 shown]
	scratch_store_b32 v67, v33, off
	s_waitcnt lgkmcnt(5)
	s_clause 0x1
	scratch_store_b32 v67, v34, off offset:16
	scratch_store_b32 v67, v35, off offset:32
	s_waitcnt lgkmcnt(1)
	s_clause 0x3
	scratch_store_b32 v67, v36, off offset:48
	scratch_store_b32 v67, v37, off offset:64
	;; [unrolled: 1-line block ×4, first 2 shown]
	s_waitcnt lgkmcnt(0)
	s_clause 0x10
	scratch_store_b32 v67, v40, off offset:112
	scratch_store_b32 v69, v41, off
	scratch_store_b32 v69, v42, off offset:16
	scratch_store_b32 v69, v43, off offset:32
	;; [unrolled: 1-line block ×7, first 2 shown]
	scratch_store_b32 v68, v49, off
	scratch_store_b32 v68, v50, off offset:16
	scratch_store_b32 v68, v51, off offset:32
	;; [unrolled: 1-line block ×6, first 2 shown]
	scratch_store_b32 v71, v57, off
	v_mov_b32_dpp v63, v63 quad_perm:[1,2,3,0] row_mask:0xf bank_mask:0xf
	v_mov_b32_dpp v56, v56 quad_perm:[2,3,0,1] row_mask:0xf bank_mask:0xf
	scratch_load_b128 v[33:36], off, off offset:128
	s_clause 0x1
	scratch_store_b32 v71, v61, off offset:64
	scratch_store_b32 v72, v58, off offset:128
	v_mov_b32_dpp v54, v62 quad_perm:[1,2,3,0] row_mask:0xf bank_mask:0xf
	v_or_b32_e32 v61, 0x70, v70
	v_mov_b32_dpp v62, v64 quad_perm:[1,2,3,0] row_mask:0xf bank_mask:0xf
	v_or_b32_e32 v53, 0x50, v70
	s_clause 0x1
	scratch_store_b32 v71, v59, off offset:32
	scratch_store_b32 v73, v60, off offset:128
	s_clause 0x3
	scratch_load_b128 v[37:40], off, off offset:144
	scratch_load_b128 v[41:44], off, off offset:160
	;; [unrolled: 1-line block ×4, first 2 shown]
	s_clause 0x3
	scratch_store_b32 v68, v56, off offset:112
	scratch_store_b32 v53, v54, off offset:128
	;; [unrolled: 1-line block ×4, first 2 shown]
	s_clause 0x2
	scratch_load_b128 v[53:56], off, off offset:208
	scratch_load_b128 v[57:60], off, off offset:224
	;; [unrolled: 1-line block ×3, first 2 shown]
	s_waitcnt vmcnt(7)
	v_mov_b32_dpp v34, v34 quad_perm:[1,2,3,0] row_mask:0xf bank_mask:0xf
	v_mov_b32_dpp v35, v35 quad_perm:[2,3,0,1] row_mask:0xf bank_mask:0xf
	v_mov_b32_dpp v36, v36 quad_perm:[3,0,1,2] row_mask:0xf bank_mask:0xf
	s_waitcnt vmcnt(6)
	v_mov_b32_dpp v38, v38 quad_perm:[1,2,3,0] row_mask:0xf bank_mask:0xf
	v_mov_b32_dpp v39, v39 quad_perm:[2,3,0,1] row_mask:0xf bank_mask:0xf
	v_mov_b32_dpp v40, v40 quad_perm:[3,0,1,2] row_mask:0xf bank_mask:0xf
	;; [unrolled: 4-line block ×8, first 2 shown]
	s_and_not1_b32 vcc_lo, exec_lo, s0
	s_cbranch_vccz .LBB2_3
	s_branch .LBB2_4
.LBB2_2:
                                        ; implicit-def: $vgpr64
                                        ; implicit-def: $vgpr60
                                        ; implicit-def: $vgpr56
                                        ; implicit-def: $vgpr52
                                        ; implicit-def: $vgpr48
                                        ; implicit-def: $vgpr44
                                        ; implicit-def: $vgpr40
                                        ; implicit-def: $vgpr36
.LBB2_3:
	v_lshlrev_b32_e32 v33, 2, v65
	s_waitcnt vmcnt(7)
	scratch_store_b128 off, v[13:16], off
	s_waitcnt vmcnt(6)
	scratch_store_b128 off, v[9:12], off offset:16
	s_waitcnt vmcnt(4)
	scratch_store_b128 off, v[1:4], off offset:48
	s_waitcnt vmcnt(3)
	scratch_store_b128 off, v[29:32], off offset:64
	v_bfe_u32 v34, v65, 2, 1
	s_waitcnt vmcnt(2)
	scratch_store_b128 off, v[25:28], off offset:80
	s_waitcnt vmcnt(1)
	scratch_store_b128 off, v[21:24], off offset:96
	v_xor_b32_e32 v33, 16, v33
	s_waitcnt vmcnt(0)
	scratch_store_b128 off, v[17:20], off offset:112
	v_lshlrev_b32_e32 v35, 2, v34
	v_xor_b32_e32 v36, 1, v34
	ds_bpermute_b32 v29, v33, v29
	ds_bpermute_b32 v32, v33, v32
	;; [unrolled: 1-line block ×5, first 2 shown]
	v_or_b32_e32 v38, 0, v35
	ds_bpermute_b32 v28, v33, v28
	ds_bpermute_b32 v21, v33, v21
	v_lshl_or_b32 v36, v36, 2, 0
	ds_bpermute_b32 v22, v33, v22
	ds_bpermute_b32 v30, v33, v30
	;; [unrolled: 1-line block ×4, first 2 shown]
	v_xor_b32_e32 v37, 3, v34
	s_clause 0x1
	scratch_store_b32 v38, v13, off
	scratch_store_b32 v38, v14, off offset:8
	s_waitcnt lgkmcnt(10)
	scratch_store_b32 v36, v29, off
	scratch_store_b128 off, v[5:8], off offset:32
	ds_bpermute_b32 v13, v33, v24
	ds_bpermute_b32 v14, v33, v17
	;; [unrolled: 1-line block ×5, first 2 shown]
	v_xor_b32_e32 v19, 7, v34
	s_clause 0x5
	scratch_store_b32 v38, v15, off offset:16
	scratch_store_b32 v38, v16, off offset:24
	;; [unrolled: 1-line block ×6, first 2 shown]
	v_xor_b32_e32 v11, 15, v34
	v_sub_nc_u32_e32 v9, 0, v35
	v_lshl_or_b32 v37, v37, 2, 0
	v_lshlrev_b32_e32 v10, 2, v19
	s_clause 0x7
	scratch_store_b32 v38, v5, off offset:64
	scratch_store_b32 v38, v6, off offset:72
	;; [unrolled: 1-line block ×8, first 2 shown]
	s_waitcnt lgkmcnt(7)
	scratch_store_b32 v37, v30, off
	s_waitcnt lgkmcnt(5)
	scratch_store_b32 v9, v31, off offset:20
	v_lshlrev_b32_e32 v1, 2, v11
	s_clause 0x7
	scratch_store_b32 v10, v32, off
	scratch_store_b32 v9, v25, off offset:36
	scratch_store_b32 v9, v26, off offset:44
	;; [unrolled: 1-line block ×3, first 2 shown]
	scratch_store_b32 v1, v28, off
	scratch_store_b32 v9, v21, off offset:68
	scratch_store_b32 v9, v22, off offset:76
	;; [unrolled: 1-line block ×3, first 2 shown]
	s_waitcnt lgkmcnt(4)
	scratch_store_b32 v9, v13, off offset:92
	s_waitcnt lgkmcnt(3)
	scratch_store_b32 v9, v14, off offset:100
	s_waitcnt lgkmcnt(2)
	scratch_store_b32 v9, v17, off offset:108
	s_waitcnt lgkmcnt(1)
	scratch_store_b32 v9, v18, off offset:116
	v_xor_b32_e32 v17, 31, v34
	s_clause 0x3
	scratch_load_b128 v[1:4], off, off
	scratch_load_b128 v[5:8], off, off offset:16
	scratch_load_b128 v[9:12], off, off offset:32
	;; [unrolled: 1-line block ×3, first 2 shown]
	v_and_b32_e32 v34, 3, v65
	v_add_nc_u32_e32 v36, -1, v65
	v_lshlrev_b32_e32 v30, 2, v17
	s_clause 0x2
	scratch_load_b128 v[17:20], off, off offset:64
	scratch_load_b128 v[21:24], off, off offset:80
	;; [unrolled: 1-line block ×3, first 2 shown]
	v_xor_b32_e32 v35, 2, v34
	v_and_b32_e32 v36, 3, v36
	s_waitcnt lgkmcnt(0)
	scratch_store_b32 v30, v29, off
	scratch_load_b128 v[29:32], off, off offset:112
	v_lshl_or_b32 v34, v34, 2, 0x80
	v_add_nc_u32_e32 v37, 3, v35
	v_lshl_or_b32 v36, v36, 2, 0x80
	v_lshl_or_b32 v53, v35, 2, 0x80
	s_delay_alu instid0(VALU_DEP_3) | instskip(SKIP_1) | instid1(VALU_DEP_2)
	v_and_b32_e32 v38, 3, v37
	v_lshlrev_b32_e32 v49, 2, v37
	v_lshl_or_b32 v57, v38, 2, 0x80
	s_delay_alu instid0(VALU_DEP_2)
	v_or_b32_e32 v45, 48, v49
	v_or_b32_e32 v37, 16, v49
	s_waitcnt vmcnt(6)
	ds_bpermute_b32 v6, v33, v6
	ds_bpermute_b32 v4, v33, v4
	s_waitcnt vmcnt(5)
	ds_bpermute_b32 v10, v33, v10
	ds_bpermute_b32 v12, v33, v12
	;; [unrolled: 3-line block ×4, first 2 shown]
	ds_bpermute_b32 v20, v33, v20
	ds_bpermute_b32 v22, v33, v22
	;; [unrolled: 1-line block ×4, first 2 shown]
	s_waitcnt vmcnt(0)
	ds_bpermute_b32 v32, v33, v32
	ds_bpermute_b32 v2, v33, v2
	ds_bpermute_b32 v30, v33, v30
	ds_bpermute_b32 v8, v33, v8
	v_mov_b32_dpp v27, v27 quad_perm:[1,2,3,0] row_mask:0xf bank_mask:0xf
	v_mov_b32_dpp v29, v29 quad_perm:[1,2,3,0] row_mask:0xf bank_mask:0xf
	;; [unrolled: 1-line block ×10, first 2 shown]
	s_waitcnt lgkmcnt(9)
	v_mov_b32_dpp v28, v28 quad_perm:[1,2,3,0] row_mask:0xf bank_mask:0xf
	v_mov_b32_dpp v25, v25 quad_perm:[1,2,3,0] row_mask:0xf bank_mask:0xf
	;; [unrolled: 1-line block ×7, first 2 shown]
	s_waitcnt lgkmcnt(8)
	v_mov_b32_dpp v18, v18 quad_perm:[2,3,0,1] row_mask:0xf bank_mask:0xf
	s_waitcnt lgkmcnt(7)
	v_mov_b32_dpp v20, v20 quad_perm:[2,3,0,1] row_mask:0xf bank_mask:0xf
	;; [unrolled: 2-line block ×5, first 2 shown]
	scratch_store_b32 v34, v1, off
	s_waitcnt lgkmcnt(2)
	s_clause 0x5
	scratch_store_b32 v34, v2, off offset:16
	scratch_store_b32 v34, v3, off offset:32
	;; [unrolled: 1-line block ×6, first 2 shown]
	s_waitcnt lgkmcnt(0)
	s_clause 0x10
	scratch_store_b32 v34, v8, off offset:112
	scratch_store_b32 v36, v9, off
	scratch_store_b32 v36, v10, off offset:16
	scratch_store_b32 v36, v11, off offset:32
	;; [unrolled: 1-line block ×7, first 2 shown]
	scratch_store_b32 v53, v17, off
	scratch_store_b32 v53, v18, off offset:16
	scratch_store_b32 v53, v19, off offset:32
	;; [unrolled: 1-line block ×6, first 2 shown]
	scratch_store_b32 v57, v25, off
	v_or_b32_e32 v3, 0x70, v49
	v_mov_b32_dpp v4, v32 quad_perm:[1,2,3,0] row_mask:0xf bank_mask:0xf
	v_or_b32_e32 v1, 0x50, v49
	v_mov_b32_dpp v2, v30 quad_perm:[1,2,3,0] row_mask:0xf bank_mask:0xf
	scratch_load_b128 v[33:36], off, off offset:128
	s_clause 0x3
	scratch_store_b32 v57, v29, off offset:64
	scratch_store_b32 v37, v26, off offset:128
	;; [unrolled: 1-line block ×4, first 2 shown]
	s_clause 0x3
	scratch_load_b128 v[37:40], off, off offset:144
	scratch_load_b128 v[41:44], off, off offset:160
	;; [unrolled: 1-line block ×4, first 2 shown]
	s_clause 0x3
	scratch_store_b32 v53, v24, off offset:112
	scratch_store_b32 v1, v2, off offset:128
	scratch_store_b32 v57, v31, off offset:96
	scratch_store_b32 v3, v4, off offset:128
	s_clause 0x2
	scratch_load_b128 v[53:56], off, off offset:208
	scratch_load_b128 v[57:60], off, off offset:224
	;; [unrolled: 1-line block ×3, first 2 shown]
	s_waitcnt vmcnt(7)
	v_mov_b32_dpp v34, v34 quad_perm:[1,2,3,0] row_mask:0xf bank_mask:0xf
	v_mov_b32_dpp v35, v35 quad_perm:[2,3,0,1] row_mask:0xf bank_mask:0xf
	v_mov_b32_dpp v36, v36 quad_perm:[3,0,1,2] row_mask:0xf bank_mask:0xf
	s_waitcnt vmcnt(6)
	v_mov_b32_dpp v38, v38 quad_perm:[1,2,3,0] row_mask:0xf bank_mask:0xf
	v_mov_b32_dpp v39, v39 quad_perm:[2,3,0,1] row_mask:0xf bank_mask:0xf
	v_mov_b32_dpp v40, v40 quad_perm:[3,0,1,2] row_mask:0xf bank_mask:0xf
	;; [unrolled: 4-line block ×8, first 2 shown]
.LBB2_4:
	v_lshlrev_b32_e32 v0, 2, v0
	s_clause 0x7
	global_store_b128 v0, v[33:36], s[6:7]
	global_store_b128 v0, v[37:40], s[6:7] offset:16
	global_store_b128 v0, v[41:44], s[6:7] offset:32
	;; [unrolled: 1-line block ×7, first 2 shown]
	s_endpgm
	.section	.rodata,"a",@progbits
	.p2align	6, 0x0
	.amdhsa_kernel _Z20warp_exchange_kernelILj32ELj8EN6common25StripedToBlockedShuffleOpEiEvPT2_S3_b
		.amdhsa_group_segment_fixed_size 0
		.amdhsa_private_segment_fixed_size 272
		.amdhsa_kernarg_size 20
		.amdhsa_user_sgpr_count 15
		.amdhsa_user_sgpr_dispatch_ptr 0
		.amdhsa_user_sgpr_queue_ptr 0
		.amdhsa_user_sgpr_kernarg_segment_ptr 1
		.amdhsa_user_sgpr_dispatch_id 0
		.amdhsa_user_sgpr_private_segment_size 0
		.amdhsa_wavefront_size32 1
		.amdhsa_uses_dynamic_stack 0
		.amdhsa_enable_private_segment 1
		.amdhsa_system_sgpr_workgroup_id_x 1
		.amdhsa_system_sgpr_workgroup_id_y 0
		.amdhsa_system_sgpr_workgroup_id_z 0
		.amdhsa_system_sgpr_workgroup_info 0
		.amdhsa_system_vgpr_workitem_id 0
		.amdhsa_next_free_vgpr 74
		.amdhsa_next_free_sgpr 8
		.amdhsa_reserve_vcc 1
		.amdhsa_float_round_mode_32 0
		.amdhsa_float_round_mode_16_64 0
		.amdhsa_float_denorm_mode_32 3
		.amdhsa_float_denorm_mode_16_64 3
		.amdhsa_dx10_clamp 1
		.amdhsa_ieee_mode 1
		.amdhsa_fp16_overflow 0
		.amdhsa_workgroup_processor_mode 1
		.amdhsa_memory_ordered 1
		.amdhsa_forward_progress 0
		.amdhsa_shared_vgpr_count 0
		.amdhsa_exception_fp_ieee_invalid_op 0
		.amdhsa_exception_fp_denorm_src 0
		.amdhsa_exception_fp_ieee_div_zero 0
		.amdhsa_exception_fp_ieee_overflow 0
		.amdhsa_exception_fp_ieee_underflow 0
		.amdhsa_exception_fp_ieee_inexact 0
		.amdhsa_exception_int_div_zero 0
	.end_amdhsa_kernel
	.section	.text._Z20warp_exchange_kernelILj32ELj8EN6common25StripedToBlockedShuffleOpEiEvPT2_S3_b,"axG",@progbits,_Z20warp_exchange_kernelILj32ELj8EN6common25StripedToBlockedShuffleOpEiEvPT2_S3_b,comdat
.Lfunc_end2:
	.size	_Z20warp_exchange_kernelILj32ELj8EN6common25StripedToBlockedShuffleOpEiEvPT2_S3_b, .Lfunc_end2-_Z20warp_exchange_kernelILj32ELj8EN6common25StripedToBlockedShuffleOpEiEvPT2_S3_b
                                        ; -- End function
	.section	.AMDGPU.csdata,"",@progbits
; Kernel info:
; codeLenInByte = 3640
; NumSgprs: 10
; NumVgprs: 74
; ScratchSize: 272
; MemoryBound: 1
; FloatMode: 240
; IeeeMode: 1
; LDSByteSize: 0 bytes/workgroup (compile time only)
; SGPRBlocks: 1
; VGPRBlocks: 9
; NumSGPRsForWavesPerEU: 10
; NumVGPRsForWavesPerEU: 74
; Occupancy: 16
; WaveLimiterHint : 0
; COMPUTE_PGM_RSRC2:SCRATCH_EN: 1
; COMPUTE_PGM_RSRC2:USER_SGPR: 15
; COMPUTE_PGM_RSRC2:TRAP_HANDLER: 0
; COMPUTE_PGM_RSRC2:TGID_X_EN: 1
; COMPUTE_PGM_RSRC2:TGID_Y_EN: 0
; COMPUTE_PGM_RSRC2:TGID_Z_EN: 0
; COMPUTE_PGM_RSRC2:TIDIG_COMP_CNT: 0
	.section	.text._Z20warp_exchange_kernelILj32ELj64EN6common25StripedToBlockedShuffleOpEaEvPT2_S3_b,"axG",@progbits,_Z20warp_exchange_kernelILj32ELj64EN6common25StripedToBlockedShuffleOpEaEvPT2_S3_b,comdat
	.protected	_Z20warp_exchange_kernelILj32ELj64EN6common25StripedToBlockedShuffleOpEaEvPT2_S3_b ; -- Begin function _Z20warp_exchange_kernelILj32ELj64EN6common25StripedToBlockedShuffleOpEaEvPT2_S3_b
	.globl	_Z20warp_exchange_kernelILj32ELj64EN6common25StripedToBlockedShuffleOpEaEvPT2_S3_b
	.p2align	8
	.type	_Z20warp_exchange_kernelILj32ELj64EN6common25StripedToBlockedShuffleOpEaEvPT2_S3_b,@function
_Z20warp_exchange_kernelILj32ELj64EN6common25StripedToBlockedShuffleOpEaEvPT2_S3_b: ; @_Z20warp_exchange_kernelILj32ELj64EN6common25StripedToBlockedShuffleOpEaEvPT2_S3_b
; %bb.0:
	s_endpgm
	.section	.rodata,"a",@progbits
	.p2align	6, 0x0
	.amdhsa_kernel _Z20warp_exchange_kernelILj32ELj64EN6common25StripedToBlockedShuffleOpEaEvPT2_S3_b
		.amdhsa_group_segment_fixed_size 0
		.amdhsa_private_segment_fixed_size 0
		.amdhsa_kernarg_size 20
		.amdhsa_user_sgpr_count 15
		.amdhsa_user_sgpr_dispatch_ptr 0
		.amdhsa_user_sgpr_queue_ptr 0
		.amdhsa_user_sgpr_kernarg_segment_ptr 1
		.amdhsa_user_sgpr_dispatch_id 0
		.amdhsa_user_sgpr_private_segment_size 0
		.amdhsa_wavefront_size32 1
		.amdhsa_uses_dynamic_stack 0
		.amdhsa_enable_private_segment 0
		.amdhsa_system_sgpr_workgroup_id_x 1
		.amdhsa_system_sgpr_workgroup_id_y 0
		.amdhsa_system_sgpr_workgroup_id_z 0
		.amdhsa_system_sgpr_workgroup_info 0
		.amdhsa_system_vgpr_workitem_id 0
		.amdhsa_next_free_vgpr 1
		.amdhsa_next_free_sgpr 1
		.amdhsa_reserve_vcc 0
		.amdhsa_float_round_mode_32 0
		.amdhsa_float_round_mode_16_64 0
		.amdhsa_float_denorm_mode_32 3
		.amdhsa_float_denorm_mode_16_64 3
		.amdhsa_dx10_clamp 1
		.amdhsa_ieee_mode 1
		.amdhsa_fp16_overflow 0
		.amdhsa_workgroup_processor_mode 1
		.amdhsa_memory_ordered 1
		.amdhsa_forward_progress 0
		.amdhsa_shared_vgpr_count 0
		.amdhsa_exception_fp_ieee_invalid_op 0
		.amdhsa_exception_fp_denorm_src 0
		.amdhsa_exception_fp_ieee_div_zero 0
		.amdhsa_exception_fp_ieee_overflow 0
		.amdhsa_exception_fp_ieee_underflow 0
		.amdhsa_exception_fp_ieee_inexact 0
		.amdhsa_exception_int_div_zero 0
	.end_amdhsa_kernel
	.section	.text._Z20warp_exchange_kernelILj32ELj64EN6common25StripedToBlockedShuffleOpEaEvPT2_S3_b,"axG",@progbits,_Z20warp_exchange_kernelILj32ELj64EN6common25StripedToBlockedShuffleOpEaEvPT2_S3_b,comdat
.Lfunc_end3:
	.size	_Z20warp_exchange_kernelILj32ELj64EN6common25StripedToBlockedShuffleOpEaEvPT2_S3_b, .Lfunc_end3-_Z20warp_exchange_kernelILj32ELj64EN6common25StripedToBlockedShuffleOpEaEvPT2_S3_b
                                        ; -- End function
	.section	.AMDGPU.csdata,"",@progbits
; Kernel info:
; codeLenInByte = 4
; NumSgprs: 0
; NumVgprs: 0
; ScratchSize: 0
; MemoryBound: 0
; FloatMode: 240
; IeeeMode: 1
; LDSByteSize: 0 bytes/workgroup (compile time only)
; SGPRBlocks: 0
; VGPRBlocks: 0
; NumSGPRsForWavesPerEU: 1
; NumVGPRsForWavesPerEU: 1
; Occupancy: 16
; WaveLimiterHint : 0
; COMPUTE_PGM_RSRC2:SCRATCH_EN: 0
; COMPUTE_PGM_RSRC2:USER_SGPR: 15
; COMPUTE_PGM_RSRC2:TRAP_HANDLER: 0
; COMPUTE_PGM_RSRC2:TGID_X_EN: 1
; COMPUTE_PGM_RSRC2:TGID_Y_EN: 0
; COMPUTE_PGM_RSRC2:TGID_Z_EN: 0
; COMPUTE_PGM_RSRC2:TIDIG_COMP_CNT: 0
	.section	.text._Z20warp_exchange_kernelILj8ELj32EN6common25StripedToBlockedShuffleOpEdEvPT2_S3_b,"axG",@progbits,_Z20warp_exchange_kernelILj8ELj32EN6common25StripedToBlockedShuffleOpEdEvPT2_S3_b,comdat
	.protected	_Z20warp_exchange_kernelILj8ELj32EN6common25StripedToBlockedShuffleOpEdEvPT2_S3_b ; -- Begin function _Z20warp_exchange_kernelILj8ELj32EN6common25StripedToBlockedShuffleOpEdEvPT2_S3_b
	.globl	_Z20warp_exchange_kernelILj8ELj32EN6common25StripedToBlockedShuffleOpEdEvPT2_S3_b
	.p2align	8
	.type	_Z20warp_exchange_kernelILj8ELj32EN6common25StripedToBlockedShuffleOpEdEvPT2_S3_b,@function
_Z20warp_exchange_kernelILj8ELj32EN6common25StripedToBlockedShuffleOpEdEvPT2_S3_b: ; @_Z20warp_exchange_kernelILj8ELj32EN6common25StripedToBlockedShuffleOpEdEvPT2_S3_b
; %bb.0:
	s_load_b128 s[4:7], s[2:3], 0x0
	v_and_b32_e32 v17, 0x3ff, v0
	s_load_b32 s2, s[2:3], 0x10
	v_mbcnt_lo_u32_b32 v18, -1, 0
	s_delay_alu instid0(VALU_DEP_2) | instskip(SKIP_1) | instid1(VALU_DEP_3)
	v_lshlrev_b32_e32 v1, 6, v17
	v_lshlrev_b32_e32 v33, 3, v17
	v_add_nc_u32_e32 v19, 28, v18
	v_add_nc_u32_e32 v43, 24, v18
	;; [unrolled: 1-line block ×3, first 2 shown]
	v_lshlrev_b32_e32 v41, 2, v18
	v_add_nc_u32_e32 v40, 12, v18
	v_and_b32_e32 v19, 31, v19
	v_add_nc_u32_e32 v39, 8, v18
	v_add_nc_u32_e32 v38, 4, v18
	v_lshrrev_b32_e32 v37, 2, v18
	v_and_b32_e32 v35, 3, v18
	v_lshlrev_b32_e32 v34, 2, v19
	v_add_nc_u32_e32 v36, -1, v18
	s_waitcnt lgkmcnt(0)
	s_clause 0x3
	global_load_b128 v[5:8], v1, s[4:5] offset:48
	global_load_b128 v[9:12], v1, s[4:5] offset:32
	;; [unrolled: 1-line block ×3, first 2 shown]
	global_load_b128 v[1:4], v1, s[4:5]
	s_bitcmp0_b32 s2, 0
	s_mov_b32 s2, -1
	s_cbranch_scc0 .LBB4_2
; %bb.1:
	s_load_b64 s[0:1], s[0:1], 0x4
	v_and_b32_e32 v20, 31, v43
	v_bfe_u32 v24, v0, 10, 10
	s_waitcnt vmcnt(0)
	ds_bpermute_b32 v18, v34, v3
	ds_bpermute_b32 v19, v34, v4
	v_and_b32_e32 v21, 31, v42
	v_and_b32_e32 v22, 31, v40
	;; [unrolled: 1-line block ×3, first 2 shown]
	v_lshlrev_b32_e32 v46, 2, v20
	v_bfe_u32 v0, v0, 20, 10
	v_add_nc_u32_e32 v26, -1, v37
	v_and_b32_e32 v25, 31, v38
	v_lshlrev_b32_e32 v47, 2, v21
	v_lshlrev_b32_e32 v48, 2, v22
	;; [unrolled: 1-line block ×3, first 2 shown]
	ds_bpermute_b32 v22, v46, v13
	ds_bpermute_b32 v23, v46, v14
	v_xor_b32_e32 v44, 64, v41
	v_add_nc_u32_e32 v27, 6, v37
	v_and_b32_e32 v51, 7, v26
	s_waitcnt lgkmcnt(0)
	s_lshr_b32 s0, s0, 16
	v_lshlrev_b32_e32 v50, 2, v25
	s_mul_i32 s0, s0, s1
	ds_bpermute_b32 v25, v47, v16
	v_mul_lo_u32 v17, s0, v17
	ds_bpermute_b32 v20, v44, v9
	ds_bpermute_b32 v21, v44, v10
	v_xor_b32_e32 v45, 4, v37
	v_and_b32_e32 v52, 7, v27
	ds_bpermute_b32 v26, v48, v11
	ds_bpermute_b32 v27, v48, v12
	;; [unrolled: 1-line block ×3, first 2 shown]
	v_mad_u32_u24 v17, v24, s1, v17
	ds_bpermute_b32 v24, v47, v15
	ds_bpermute_b32 v29, v49, v6
	;; [unrolled: 1-line block ×4, first 2 shown]
	v_add_lshl_u32 v0, v17, v0, 6
	v_add_nc_u32_e32 v32, 5, v37
	ds_store_b128 v0, v[1:4]
	ds_store_b128 v0, v[13:16] offset:16
	v_lshl_or_b32 v17, v37, 3, v0
	v_lshl_or_b32 v51, v51, 3, v0
	ds_store_b128 v0, v[9:12] offset:32
	ds_store_b128 v0, v[5:8] offset:48
	v_lshl_or_b32 v52, v52, 3, v0
	ds_store_b64 v17, v[1:2]
	ds_store_b64 v51, v[18:19]
	v_add_nc_u32_e32 v17, -1, v45
	v_add_nc_u32_e32 v18, 6, v45
	v_add_nc_u32_e32 v19, 5, v45
	v_and_b32_e32 v32, 7, v32
	ds_store_b64 v52, v[22:23]
	v_and_b32_e32 v17, 7, v17
	v_and_b32_e32 v18, 7, v18
	;; [unrolled: 1-line block ×3, first 2 shown]
	v_lshl_or_b32 v22, v32, 3, v0
	v_lshl_or_b32 v23, v45, 3, v0
	;; [unrolled: 1-line block ×5, first 2 shown]
	s_waitcnt lgkmcnt(10)
	ds_store_b64 v22, v[24:25]
	ds_store_b64 v23, v[20:21]
	;; [unrolled: 1-line block ×3, first 2 shown]
	s_waitcnt lgkmcnt(12)
	ds_store_b64 v18, v[28:29]
	s_waitcnt lgkmcnt(11)
	ds_store_b64 v19, v[30:31]
	ds_load_2addr_b64 v[17:20], v0 offset0:1 offset1:2
	ds_load_2addr_b64 v[21:24], v0 offset0:3 offset1:4
	;; [unrolled: 1-line block ×3, first 2 shown]
	ds_load_2addr_b64 v[29:32], v0 offset1:7
	v_and_b32_e32 v45, 3, v36
	s_delay_alu instid0(VALU_DEP_1)
	v_lshlrev_b32_e32 v45, 3, v45
	s_waitcnt lgkmcnt(3)
	ds_bpermute_b32 v0, v49, v19
	ds_bpermute_b32 v20, v49, v20
	s_waitcnt lgkmcnt(3)
	ds_bpermute_b32 v25, v47, v25
	ds_bpermute_b32 v26, v47, v26
	;; [unrolled: 1-line block ×4, first 2 shown]
	s_waitcnt lgkmcnt(6)
	ds_bpermute_b32 v31, v34, v31
	ds_bpermute_b32 v32, v34, v32
	;; [unrolled: 1-line block ×6, first 2 shown]
	v_xor_b32_e32 v44, 2, v35
	ds_bpermute_b32 v17, v50, v17
	ds_bpermute_b32 v18, v50, v18
	v_lshlrev_b32_e32 v47, 3, v35
	s_waitcnt lgkmcnt(13)
	v_mov_b32_dpp v19, v0 quad_perm:[3,0,1,2] row_mask:0xf bank_mask:0xf
	v_add_nc_u32_e32 v0, 3, v44
	s_waitcnt lgkmcnt(11)
	v_mov_b32_dpp v25, v25 quad_perm:[2,3,0,1] row_mask:0xf bank_mask:0xf
	s_waitcnt lgkmcnt(10)
	v_mov_b32_dpp v26, v26 quad_perm:[2,3,0,1] row_mask:0xf bank_mask:0xf
	;; [unrolled: 2-line block ×4, first 2 shown]
	v_and_b32_e32 v46, 3, v0
	v_lshlrev_b32_e32 v44, 3, v44
	v_mov_b32_dpp v20, v20 quad_perm:[3,0,1,2] row_mask:0xf bank_mask:0xf
	s_waitcnt lgkmcnt(7)
	v_mov_b32_dpp v31, v31 quad_perm:[1,2,3,0] row_mask:0xf bank_mask:0xf
	s_waitcnt lgkmcnt(6)
	v_mov_b32_dpp v32, v32 quad_perm:[1,2,3,0] row_mask:0xf bank_mask:0xf
	v_lshlrev_b32_e32 v46, 3, v46
	v_lshl_or_b32 v0, v0, 3, 32
	s_waitcnt lgkmcnt(5)
	v_mov_b32_dpp v21, v21 quad_perm:[3,0,1,2] row_mask:0xf bank_mask:0xf
	s_waitcnt lgkmcnt(4)
	v_mov_b32_dpp v22, v22 quad_perm:[3,0,1,2] row_mask:0xf bank_mask:0xf
	;; [unrolled: 2-line block ×4, first 2 shown]
	scratch_store_b64 v47, v[29:30], off
	s_waitcnt lgkmcnt(0)
	s_clause 0x6
	scratch_store_b64 v47, v[17:18], off offset:32
	scratch_store_b64 v45, v[19:20], off
	scratch_store_b64 v45, v[21:22], off offset:32
	scratch_store_b64 v44, v[23:24], off
	;; [unrolled: 2-line block ×3, first 2 shown]
	scratch_store_b64 v0, v[31:32], off
	s_clause 0x5
	scratch_load_b128 v[19:22], off, off offset:8
	scratch_load_b64 v[23:24], off, off offset:24
	scratch_load_b128 v[44:47], off, off offset:40
	scratch_load_b64 v[48:49], off, off offset:56
	scratch_load_b64 v[29:30], off, off
	scratch_load_b64 v[17:18], off, off offset:32
	s_waitcnt vmcnt(5)
	v_mov_b32_dpp v31, v19 quad_perm:[1,2,3,0] row_mask:0xf bank_mask:0xf
	v_mov_b32_dpp v32, v20 quad_perm:[1,2,3,0] row_mask:0xf bank_mask:0xf
	;; [unrolled: 1-line block ×4, first 2 shown]
	s_waitcnt vmcnt(4)
	v_mov_b32_dpp v27, v23 quad_perm:[3,0,1,2] row_mask:0xf bank_mask:0xf
	v_mov_b32_dpp v28, v24 quad_perm:[3,0,1,2] row_mask:0xf bank_mask:0xf
	s_waitcnt vmcnt(3)
	v_mov_b32_dpp v19, v44 quad_perm:[1,2,3,0] row_mask:0xf bank_mask:0xf
	v_mov_b32_dpp v20, v45 quad_perm:[1,2,3,0] row_mask:0xf bank_mask:0xf
	;; [unrolled: 1-line block ×4, first 2 shown]
	s_waitcnt vmcnt(2)
	v_mov_b32_dpp v23, v48 quad_perm:[3,0,1,2] row_mask:0xf bank_mask:0xf
	v_mov_b32_dpp v24, v49 quad_perm:[3,0,1,2] row_mask:0xf bank_mask:0xf
	s_cbranch_execz .LBB4_3
	s_branch .LBB4_4
.LBB4_2:
                                        ; implicit-def: $vgpr23_vgpr24
                                        ; implicit-def: $vgpr19_vgpr20
                                        ; implicit-def: $vgpr27_vgpr28
                                        ; implicit-def: $vgpr31_vgpr32
	s_and_not1_b32 vcc_lo, exec_lo, s2
	s_cbranch_vccnz .LBB4_4
.LBB4_3:
	v_and_b32_e32 v0, 31, v43
	s_waitcnt vmcnt(0)
	s_clause 0x1
	scratch_store_b128 off, v[1:4], off
	scratch_store_b128 off, v[13:16], off offset:16
	ds_bpermute_b32 v3, v34, v3
	ds_bpermute_b32 v4, v34, v4
	v_and_b32_e32 v17, 31, v42
	v_lshlrev_b32_e32 v18, 2, v0
	v_and_b32_e32 v0, 31, v40
	v_add_nc_u32_e32 v22, -1, v37
	v_and_b32_e32 v20, 31, v39
	v_lshlrev_b32_e32 v17, 2, v17
	ds_bpermute_b32 v13, v18, v13
	v_lshlrev_b32_e32 v21, 2, v0
	v_and_b32_e32 v0, 31, v38
	ds_bpermute_b32 v14, v18, v14
	v_xor_b32_e32 v19, 64, v41
	v_lshlrev_b32_e32 v20, 2, v20
	ds_bpermute_b32 v15, v17, v15
	v_lshlrev_b32_e32 v23, 2, v0
	v_and_b32_e32 v0, 7, v22
	v_add_nc_u32_e32 v22, 6, v37
	ds_bpermute_b32 v16, v17, v16
	v_lshlrev_b32_e32 v24, 3, v37
	s_clause 0x1
	scratch_store_b128 off, v[9:12], off offset:32
	scratch_store_b128 off, v[5:8], off offset:48
	ds_bpermute_b32 v9, v19, v9
	ds_bpermute_b32 v10, v19, v10
	v_lshlrev_b32_e32 v0, 3, v0
	ds_bpermute_b32 v11, v21, v11
	ds_bpermute_b32 v12, v21, v12
	v_and_b32_e32 v22, 7, v22
	v_xor_b32_e32 v25, 4, v37
	ds_bpermute_b32 v5, v20, v5
	ds_bpermute_b32 v6, v20, v6
	;; [unrolled: 1-line block ×4, first 2 shown]
	scratch_store_b64 v24, v[1:2], off
	s_waitcnt lgkmcnt(12)
	scratch_store_b64 v0, v[3:4], off
	v_add_nc_u32_e32 v0, 5, v37
	v_lshlrev_b32_e32 v1, 3, v22
	v_add_nc_u32_e32 v2, -1, v25
	v_add_nc_u32_e32 v3, 6, v25
	v_add_nc_u32_e32 v4, 5, v25
	v_and_b32_e32 v0, 7, v0
	s_waitcnt lgkmcnt(10)
	scratch_store_b64 v1, v[13:14], off
	v_and_b32_e32 v1, 7, v2
	v_and_b32_e32 v2, 7, v3
	;; [unrolled: 1-line block ×3, first 2 shown]
	v_lshlrev_b32_e32 v0, 3, v0
	v_lshlrev_b32_e32 v4, 3, v25
	;; [unrolled: 1-line block ×5, first 2 shown]
	s_waitcnt lgkmcnt(8)
	scratch_store_b64 v0, v[15:16], off
	s_waitcnt lgkmcnt(6)
	scratch_store_b64 v4, v[9:10], off
	;; [unrolled: 2-line block ×5, first 2 shown]
	s_clause 0x4
	scratch_load_b128 v[0:3], off, off offset:8
	scratch_load_b128 v[4:7], off, off offset:24
	;; [unrolled: 1-line block ×3, first 2 shown]
	scratch_load_b64 v[12:13], off, off offset:56
	scratch_load_b64 v[14:15], off, off
	v_xor_b32_e32 v16, 2, v35
	v_and_b32_e32 v22, 3, v36
	s_delay_alu instid0(VALU_DEP_2)
	v_add_nc_u32_e32 v24, 3, v16
	v_lshlrev_b32_e32 v16, 3, v16
	s_waitcnt vmcnt(4)
	ds_bpermute_b32 v2, v20, v2
	ds_bpermute_b32 v3, v20, v3
	s_waitcnt vmcnt(2)
	ds_bpermute_b32 v8, v17, v8
	ds_bpermute_b32 v9, v17, v9
	;; [unrolled: 3-line block ×3, first 2 shown]
	ds_bpermute_b32 v4, v21, v4
	ds_bpermute_b32 v5, v21, v5
	;; [unrolled: 1-line block ×8, first 2 shown]
	v_and_b32_e32 v17, 3, v24
	v_lshlrev_b32_e32 v18, 3, v35
	v_lshlrev_b32_e32 v19, 3, v22
	v_lshl_or_b32 v20, v24, 3, 32
	s_delay_alu instid0(VALU_DEP_4)
	v_lshlrev_b32_e32 v17, 3, v17
	s_waitcnt lgkmcnt(13)
	v_mov_b32_dpp v2, v2 quad_perm:[3,0,1,2] row_mask:0xf bank_mask:0xf
	s_waitcnt lgkmcnt(12)
	v_mov_b32_dpp v3, v3 quad_perm:[3,0,1,2] row_mask:0xf bank_mask:0xf
	s_waitcnt lgkmcnt(11)
	v_mov_b32_dpp v8, v8 quad_perm:[2,3,0,1] row_mask:0xf bank_mask:0xf
	s_waitcnt lgkmcnt(10)
	v_mov_b32_dpp v9, v9 quad_perm:[2,3,0,1] row_mask:0xf bank_mask:0xf
	s_waitcnt lgkmcnt(9)
	v_mov_b32_dpp v12, v12 quad_perm:[1,2,3,0] row_mask:0xf bank_mask:0xf
	s_waitcnt lgkmcnt(8)
	v_mov_b32_dpp v13, v13 quad_perm:[1,2,3,0] row_mask:0xf bank_mask:0xf
	s_waitcnt lgkmcnt(7)
	v_mov_b32_dpp v4, v4 quad_perm:[3,0,1,2] row_mask:0xf bank_mask:0xf
	s_waitcnt lgkmcnt(6)
	v_mov_b32_dpp v5, v5 quad_perm:[3,0,1,2] row_mask:0xf bank_mask:0xf
	s_waitcnt lgkmcnt(5)
	v_mov_b32_dpp v6, v6 quad_perm:[2,3,0,1] row_mask:0xf bank_mask:0xf
	s_waitcnt lgkmcnt(4)
	v_mov_b32_dpp v7, v7 quad_perm:[2,3,0,1] row_mask:0xf bank_mask:0xf
	s_waitcnt lgkmcnt(3)
	v_mov_b32_dpp v10, v10 quad_perm:[1,2,3,0] row_mask:0xf bank_mask:0xf
	s_waitcnt lgkmcnt(2)
	v_mov_b32_dpp v11, v11 quad_perm:[1,2,3,0] row_mask:0xf bank_mask:0xf
	s_waitcnt vmcnt(0)
	scratch_store_b64 v18, v[14:15], off offset:64
	s_waitcnt lgkmcnt(0)
	s_clause 0x4
	scratch_store_b64 v18, v[0:1], off offset:96
	scratch_store_b64 v19, v[2:3], off offset:64
	;; [unrolled: 1-line block ×5, first 2 shown]
	scratch_load_b128 v[0:3], off, off offset:72
	scratch_store_b64 v16, v[8:9], off offset:96
	scratch_load_b64 v[8:9], off, off offset:88
	scratch_store_b64 v20, v[12:13], off offset:64
	s_clause 0x3
	scratch_load_b128 v[4:7], off, off offset:104
	scratch_load_b64 v[10:11], off, off offset:120
	scratch_load_b64 v[29:30], off, off offset:64
	;; [unrolled: 1-line block ×3, first 2 shown]
	s_waitcnt vmcnt(5)
	v_mov_b32_dpp v31, v0 quad_perm:[1,2,3,0] row_mask:0xf bank_mask:0xf
	v_mov_b32_dpp v32, v1 quad_perm:[1,2,3,0] row_mask:0xf bank_mask:0xf
	;; [unrolled: 1-line block ×4, first 2 shown]
	s_waitcnt vmcnt(4)
	v_mov_b32_dpp v27, v8 quad_perm:[3,0,1,2] row_mask:0xf bank_mask:0xf
	v_mov_b32_dpp v28, v9 quad_perm:[3,0,1,2] row_mask:0xf bank_mask:0xf
	s_waitcnt vmcnt(3)
	v_mov_b32_dpp v19, v4 quad_perm:[1,2,3,0] row_mask:0xf bank_mask:0xf
	v_mov_b32_dpp v20, v5 quad_perm:[1,2,3,0] row_mask:0xf bank_mask:0xf
	;; [unrolled: 1-line block ×4, first 2 shown]
	s_waitcnt vmcnt(2)
	v_mov_b32_dpp v23, v10 quad_perm:[3,0,1,2] row_mask:0xf bank_mask:0xf
	v_mov_b32_dpp v24, v11 quad_perm:[3,0,1,2] row_mask:0xf bank_mask:0xf
.LBB4_4:
	v_lshlrev_b32_e32 v0, 3, v33
	s_waitcnt vmcnt(1)
	s_clause 0x1
	global_store_b128 v0, v[29:32], s[6:7]
	global_store_b128 v0, v[25:28], s[6:7] offset:16
	s_waitcnt vmcnt(0)
	s_clause 0x1
	global_store_b128 v0, v[17:20], s[6:7] offset:32
	global_store_b128 v0, v[21:24], s[6:7] offset:48
	s_endpgm
	.section	.rodata,"a",@progbits
	.p2align	6, 0x0
	.amdhsa_kernel _Z20warp_exchange_kernelILj8ELj32EN6common25StripedToBlockedShuffleOpEdEvPT2_S3_b
		.amdhsa_group_segment_fixed_size 65536
		.amdhsa_private_segment_fixed_size 144
		.amdhsa_kernarg_size 20
		.amdhsa_user_sgpr_count 15
		.amdhsa_user_sgpr_dispatch_ptr 1
		.amdhsa_user_sgpr_queue_ptr 0
		.amdhsa_user_sgpr_kernarg_segment_ptr 1
		.amdhsa_user_sgpr_dispatch_id 0
		.amdhsa_user_sgpr_private_segment_size 0
		.amdhsa_wavefront_size32 1
		.amdhsa_uses_dynamic_stack 0
		.amdhsa_enable_private_segment 1
		.amdhsa_system_sgpr_workgroup_id_x 1
		.amdhsa_system_sgpr_workgroup_id_y 0
		.amdhsa_system_sgpr_workgroup_id_z 0
		.amdhsa_system_sgpr_workgroup_info 0
		.amdhsa_system_vgpr_workitem_id 2
		.amdhsa_next_free_vgpr 53
		.amdhsa_next_free_sgpr 8
		.amdhsa_reserve_vcc 1
		.amdhsa_float_round_mode_32 0
		.amdhsa_float_round_mode_16_64 0
		.amdhsa_float_denorm_mode_32 3
		.amdhsa_float_denorm_mode_16_64 3
		.amdhsa_dx10_clamp 1
		.amdhsa_ieee_mode 1
		.amdhsa_fp16_overflow 0
		.amdhsa_workgroup_processor_mode 1
		.amdhsa_memory_ordered 1
		.amdhsa_forward_progress 0
		.amdhsa_shared_vgpr_count 0
		.amdhsa_exception_fp_ieee_invalid_op 0
		.amdhsa_exception_fp_denorm_src 0
		.amdhsa_exception_fp_ieee_div_zero 0
		.amdhsa_exception_fp_ieee_overflow 0
		.amdhsa_exception_fp_ieee_underflow 0
		.amdhsa_exception_fp_ieee_inexact 0
		.amdhsa_exception_int_div_zero 0
	.end_amdhsa_kernel
	.section	.text._Z20warp_exchange_kernelILj8ELj32EN6common25StripedToBlockedShuffleOpEdEvPT2_S3_b,"axG",@progbits,_Z20warp_exchange_kernelILj8ELj32EN6common25StripedToBlockedShuffleOpEdEvPT2_S3_b,comdat
.Lfunc_end4:
	.size	_Z20warp_exchange_kernelILj8ELj32EN6common25StripedToBlockedShuffleOpEdEvPT2_S3_b, .Lfunc_end4-_Z20warp_exchange_kernelILj8ELj32EN6common25StripedToBlockedShuffleOpEdEvPT2_S3_b
                                        ; -- End function
	.section	.AMDGPU.csdata,"",@progbits
; Kernel info:
; codeLenInByte = 2212
; NumSgprs: 10
; NumVgprs: 53
; ScratchSize: 144
; MemoryBound: 0
; FloatMode: 240
; IeeeMode: 1
; LDSByteSize: 65536 bytes/workgroup (compile time only)
; SGPRBlocks: 1
; VGPRBlocks: 6
; NumSGPRsForWavesPerEU: 10
; NumVGPRsForWavesPerEU: 53
; Occupancy: 16
; WaveLimiterHint : 0
; COMPUTE_PGM_RSRC2:SCRATCH_EN: 1
; COMPUTE_PGM_RSRC2:USER_SGPR: 15
; COMPUTE_PGM_RSRC2:TRAP_HANDLER: 0
; COMPUTE_PGM_RSRC2:TGID_X_EN: 1
; COMPUTE_PGM_RSRC2:TGID_Y_EN: 0
; COMPUTE_PGM_RSRC2:TGID_Z_EN: 0
; COMPUTE_PGM_RSRC2:TIDIG_COMP_CNT: 2
	.section	.text._Z20warp_exchange_kernelILj16ELj64EN6common25StripedToBlockedShuffleOpEfEvPT2_S3_b,"axG",@progbits,_Z20warp_exchange_kernelILj16ELj64EN6common25StripedToBlockedShuffleOpEfEvPT2_S3_b,comdat
	.protected	_Z20warp_exchange_kernelILj16ELj64EN6common25StripedToBlockedShuffleOpEfEvPT2_S3_b ; -- Begin function _Z20warp_exchange_kernelILj16ELj64EN6common25StripedToBlockedShuffleOpEfEvPT2_S3_b
	.globl	_Z20warp_exchange_kernelILj16ELj64EN6common25StripedToBlockedShuffleOpEfEvPT2_S3_b
	.p2align	8
	.type	_Z20warp_exchange_kernelILj16ELj64EN6common25StripedToBlockedShuffleOpEfEvPT2_S3_b,@function
_Z20warp_exchange_kernelILj16ELj64EN6common25StripedToBlockedShuffleOpEfEvPT2_S3_b: ; @_Z20warp_exchange_kernelILj16ELj64EN6common25StripedToBlockedShuffleOpEfEvPT2_S3_b
; %bb.0:
	s_endpgm
	.section	.rodata,"a",@progbits
	.p2align	6, 0x0
	.amdhsa_kernel _Z20warp_exchange_kernelILj16ELj64EN6common25StripedToBlockedShuffleOpEfEvPT2_S3_b
		.amdhsa_group_segment_fixed_size 0
		.amdhsa_private_segment_fixed_size 0
		.amdhsa_kernarg_size 20
		.amdhsa_user_sgpr_count 15
		.amdhsa_user_sgpr_dispatch_ptr 0
		.amdhsa_user_sgpr_queue_ptr 0
		.amdhsa_user_sgpr_kernarg_segment_ptr 1
		.amdhsa_user_sgpr_dispatch_id 0
		.amdhsa_user_sgpr_private_segment_size 0
		.amdhsa_wavefront_size32 1
		.amdhsa_uses_dynamic_stack 0
		.amdhsa_enable_private_segment 0
		.amdhsa_system_sgpr_workgroup_id_x 1
		.amdhsa_system_sgpr_workgroup_id_y 0
		.amdhsa_system_sgpr_workgroup_id_z 0
		.amdhsa_system_sgpr_workgroup_info 0
		.amdhsa_system_vgpr_workitem_id 0
		.amdhsa_next_free_vgpr 1
		.amdhsa_next_free_sgpr 1
		.amdhsa_reserve_vcc 0
		.amdhsa_float_round_mode_32 0
		.amdhsa_float_round_mode_16_64 0
		.amdhsa_float_denorm_mode_32 3
		.amdhsa_float_denorm_mode_16_64 3
		.amdhsa_dx10_clamp 1
		.amdhsa_ieee_mode 1
		.amdhsa_fp16_overflow 0
		.amdhsa_workgroup_processor_mode 1
		.amdhsa_memory_ordered 1
		.amdhsa_forward_progress 0
		.amdhsa_shared_vgpr_count 0
		.amdhsa_exception_fp_ieee_invalid_op 0
		.amdhsa_exception_fp_denorm_src 0
		.amdhsa_exception_fp_ieee_div_zero 0
		.amdhsa_exception_fp_ieee_overflow 0
		.amdhsa_exception_fp_ieee_underflow 0
		.amdhsa_exception_fp_ieee_inexact 0
		.amdhsa_exception_int_div_zero 0
	.end_amdhsa_kernel
	.section	.text._Z20warp_exchange_kernelILj16ELj64EN6common25StripedToBlockedShuffleOpEfEvPT2_S3_b,"axG",@progbits,_Z20warp_exchange_kernelILj16ELj64EN6common25StripedToBlockedShuffleOpEfEvPT2_S3_b,comdat
.Lfunc_end5:
	.size	_Z20warp_exchange_kernelILj16ELj64EN6common25StripedToBlockedShuffleOpEfEvPT2_S3_b, .Lfunc_end5-_Z20warp_exchange_kernelILj16ELj64EN6common25StripedToBlockedShuffleOpEfEvPT2_S3_b
                                        ; -- End function
	.section	.AMDGPU.csdata,"",@progbits
; Kernel info:
; codeLenInByte = 4
; NumSgprs: 0
; NumVgprs: 0
; ScratchSize: 0
; MemoryBound: 0
; FloatMode: 240
; IeeeMode: 1
; LDSByteSize: 0 bytes/workgroup (compile time only)
; SGPRBlocks: 0
; VGPRBlocks: 0
; NumSGPRsForWavesPerEU: 1
; NumVGPRsForWavesPerEU: 1
; Occupancy: 16
; WaveLimiterHint : 0
; COMPUTE_PGM_RSRC2:SCRATCH_EN: 0
; COMPUTE_PGM_RSRC2:USER_SGPR: 15
; COMPUTE_PGM_RSRC2:TRAP_HANDLER: 0
; COMPUTE_PGM_RSRC2:TGID_X_EN: 1
; COMPUTE_PGM_RSRC2:TGID_Y_EN: 0
; COMPUTE_PGM_RSRC2:TGID_Z_EN: 0
; COMPUTE_PGM_RSRC2:TIDIG_COMP_CNT: 0
	.section	.text._Z20warp_exchange_kernelILj8ELj8EN6common25StripedToBlockedShuffleOpE12hip_bfloat16EvPT2_S4_b,"axG",@progbits,_Z20warp_exchange_kernelILj8ELj8EN6common25StripedToBlockedShuffleOpE12hip_bfloat16EvPT2_S4_b,comdat
	.protected	_Z20warp_exchange_kernelILj8ELj8EN6common25StripedToBlockedShuffleOpE12hip_bfloat16EvPT2_S4_b ; -- Begin function _Z20warp_exchange_kernelILj8ELj8EN6common25StripedToBlockedShuffleOpE12hip_bfloat16EvPT2_S4_b
	.globl	_Z20warp_exchange_kernelILj8ELj8EN6common25StripedToBlockedShuffleOpE12hip_bfloat16EvPT2_S4_b
	.p2align	8
	.type	_Z20warp_exchange_kernelILj8ELj8EN6common25StripedToBlockedShuffleOpE12hip_bfloat16EvPT2_S4_b,@function
_Z20warp_exchange_kernelILj8ELj8EN6common25StripedToBlockedShuffleOpE12hip_bfloat16EvPT2_S4_b: ; @_Z20warp_exchange_kernelILj8ELj8EN6common25StripedToBlockedShuffleOpE12hip_bfloat16EvPT2_S4_b
; %bb.0:
	s_load_b128 s[4:7], s[2:3], 0x0
	v_and_b32_e32 v5, 0x3ff, v0
	s_load_b64 s[0:1], s[0:1], 0x4
	s_load_b32 s2, s[2:3], 0x10
	v_bfe_u32 v6, v0, 10, 10
	v_mbcnt_lo_u32_b32 v7, -1, 0
	v_lshlrev_b32_e32 v1, 4, v5
	v_bfe_u32 v0, v0, 20, 10
	s_delay_alu instid0(VALU_DEP_3) | instskip(SKIP_1) | instid1(VALU_DEP_2)
	v_and_b32_e32 v9, 4, v7
	v_and_b32_e32 v11, 2, v7
	v_lshlrev_b32_e32 v10, 1, v9
	v_cmp_eq_u32_e32 vcc_lo, 0, v9
	s_delay_alu instid0(VALU_DEP_2)
	v_xor_b32_e32 v15, 8, v10
	s_waitcnt lgkmcnt(0)
	global_load_b128 v[1:4], v1, s[4:5]
	s_lshr_b32 s0, s0, 16
	v_mul_u32_u24_e32 v6, s1, v6
	s_mul_i32 s0, s0, s1
	v_cndmask_b32_e64 v14, 2, 10, vcc_lo
	v_mul_lo_u32 v8, s0, v5
	v_cndmask_b32_e64 v13, 4, 12, vcc_lo
	v_cndmask_b32_e64 v12, 6, 14, vcc_lo
	v_and_b32_e32 v10, 1, v7
	s_and_b32 s0, s2, 1
	s_delay_alu instid0(SALU_CYCLE_1) | instskip(SKIP_1) | instid1(VALU_DEP_4)
	s_cmp_eq_u32 s0, 0
	s_mov_b32 s0, -1
	v_add3_u32 v6, v8, v6, v0
	v_lshlrev_b32_e32 v0, 3, v5
	s_delay_alu instid0(VALU_DEP_2)
	v_lshlrev_b32_e32 v9, 4, v6
	s_cbranch_scc0 .LBB6_2
; %bb.1:
	s_delay_alu instid0(VALU_DEP_1)
	v_or_b32_e32 v5, v9, v15
	s_waitcnt vmcnt(0)
	ds_store_b128 v9, v[1:4]
	v_or_b32_e32 v7, v9, v14
	v_cmp_eq_u32_e32 vcc_lo, 0, v11
	ds_load_u16 v6, v5
	v_cndmask_b32_e64 v17, 8, 12, vcc_lo
	v_cndmask_b32_e64 v16, 2, 6, vcc_lo
	s_delay_alu instid0(VALU_DEP_2)
	v_or_b32_e32 v17, v9, v17
	s_waitcnt lgkmcnt(0)
	ds_swizzle_b32 v6, v6 offset:swizzle(SWAP,4)
	s_waitcnt lgkmcnt(0)
	ds_store_b16 v5, v6
	ds_load_u16 v5, v7
	v_or_b32_e32 v6, v9, v13
	s_waitcnt lgkmcnt(0)
	ds_swizzle_b32 v5, v5 offset:swizzle(SWAP,4)
	s_waitcnt lgkmcnt(0)
	ds_store_b16 v7, v5
	ds_load_u16 v5, v6
	;; [unrolled: 6-line block ×3, first 2 shown]
	v_lshlrev_b32_e32 v6, 1, v11
	s_delay_alu instid0(VALU_DEP_1) | instskip(NEXT) | instid1(VALU_DEP_1)
	v_xor_b32_e32 v6, 4, v6
	v_or_b32_e32 v6, v9, v6
	ds_load_u16 v8, v6
	s_waitcnt lgkmcnt(1)
	ds_swizzle_b32 v5, v5 offset:swizzle(SWAP,4)
	s_waitcnt lgkmcnt(1)
	ds_swizzle_b32 v8, v8 offset:swizzle(SWAP,2)
	s_waitcnt lgkmcnt(1)
	ds_store_b16 v7, v5
	ds_load_u16 v5, v17
	v_or_b32_e32 v7, v9, v16
	v_lshlrev_b32_e32 v16, 1, v10
	s_delay_alu instid0(VALU_DEP_1) | instskip(NEXT) | instid1(VALU_DEP_1)
	v_xor_b32_e32 v16, 2, v16
	v_or_b32_e32 v16, v9, v16
	s_waitcnt lgkmcnt(2)
	ds_store_b16 v6, v8
	v_cndmask_b32_e64 v8, 10, 14, vcc_lo
	ds_load_u16 v6, v7
	v_cmp_eq_u32_e32 vcc_lo, 0, v10
	s_waitcnt lgkmcnt(2)
	ds_swizzle_b32 v5, v5 offset:swizzle(SWAP,2)
	v_or_b32_e32 v8, v9, v8
	v_cndmask_b32_e64 v18, 8, 10, vcc_lo
	v_cndmask_b32_e64 v19, 12, 14, vcc_lo
	s_delay_alu instid0(VALU_DEP_2) | instskip(NEXT) | instid1(VALU_DEP_2)
	v_or_b32_e32 v18, v9, v18
	v_or_b32_e32 v19, v9, v19
	s_waitcnt lgkmcnt(0)
	ds_store_b16 v17, v5
	ds_load_u16 v5, v8
	ds_swizzle_b32 v6, v6 offset:swizzle(SWAP,2)
	v_cndmask_b32_e64 v17, 4, 6, vcc_lo
	s_delay_alu instid0(VALU_DEP_1)
	v_or_b32_e32 v17, v9, v17
	s_waitcnt lgkmcnt(1)
	ds_swizzle_b32 v5, v5 offset:swizzle(SWAP,2)
	s_waitcnt lgkmcnt(1)
	ds_store_b16 v7, v6
	ds_load_u16 v6, v16
	ds_load_u16 v7, v17
	s_waitcnt lgkmcnt(3)
	ds_store_b16 v8, v5
	ds_load_u16 v5, v18
	ds_load_u16 v8, v19
	s_waitcnt lgkmcnt(4)
	ds_swizzle_b32 v6, v6 offset:swizzle(SWAP,1)
	s_waitcnt lgkmcnt(4)
	ds_swizzle_b32 v7, v7 offset:swizzle(SWAP,1)
	;; [unrolled: 2-line block ×4, first 2 shown]
	s_waitcnt lgkmcnt(3)
	ds_store_b16 v16, v6
	s_waitcnt lgkmcnt(3)
	ds_store_b16 v17, v7
	s_waitcnt lgkmcnt(3)
	ds_store_b16 v18, v5
	s_waitcnt lgkmcnt(3)
	ds_store_b16 v19, v8
	ds_load_b128 v[5:8], v9
	s_cbranch_execz .LBB6_3
	s_branch .LBB6_4
.LBB6_2:
                                        ; implicit-def: $vgpr8
	s_and_not1_b32 vcc_lo, exec_lo, s0
	s_cbranch_vccnz .LBB6_4
.LBB6_3:
	s_waitcnt lgkmcnt(0)
	v_add_nc_u32_e32 v5, 0x4000, v9
	s_waitcnt vmcnt(0)
	ds_store_b128 v9, v[1:4] offset:16384
	v_cmp_eq_u32_e32 vcc_lo, 0, v11
	v_or_b32_e32 v6, v5, v15
	v_or_b32_e32 v2, v5, v14
	;; [unrolled: 1-line block ×3, first 2 shown]
	v_cndmask_b32_e64 v7, 8, 12, vcc_lo
	ds_load_u16 v1, v6
	v_or_b32_e32 v7, v5, v7
	s_waitcnt lgkmcnt(0)
	ds_swizzle_b32 v1, v1 offset:swizzle(SWAP,4)
	s_waitcnt lgkmcnt(0)
	ds_store_b16 v6, v1
	ds_load_u16 v1, v2
	v_cndmask_b32_e64 v6, 2, 6, vcc_lo
	s_waitcnt lgkmcnt(0)
	ds_swizzle_b32 v1, v1 offset:swizzle(SWAP,4)
	s_waitcnt lgkmcnt(0)
	ds_store_b16 v2, v1
	ds_load_u16 v1, v3
	v_or_b32_e32 v2, v5, v12
	s_waitcnt lgkmcnt(0)
	ds_swizzle_b32 v1, v1 offset:swizzle(SWAP,4)
	s_waitcnt lgkmcnt(0)
	ds_store_b16 v3, v1
	ds_load_u16 v1, v2
	v_lshlrev_b32_e32 v3, 1, v11
	s_delay_alu instid0(VALU_DEP_1) | instskip(NEXT) | instid1(VALU_DEP_1)
	v_xor_b32_e32 v3, 4, v3
	v_or_b32_e32 v3, v5, v3
	ds_load_u16 v4, v3
	s_waitcnt lgkmcnt(1)
	ds_swizzle_b32 v1, v1 offset:swizzle(SWAP,4)
	s_waitcnt lgkmcnt(1)
	ds_swizzle_b32 v4, v4 offset:swizzle(SWAP,2)
	s_waitcnt lgkmcnt(1)
	ds_store_b16 v2, v1
	ds_load_u16 v1, v7
	v_or_b32_e32 v2, v5, v6
	v_lshlrev_b32_e32 v6, 1, v10
	s_delay_alu instid0(VALU_DEP_1) | instskip(NEXT) | instid1(VALU_DEP_1)
	v_xor_b32_e32 v6, 2, v6
	v_or_b32_e32 v6, v5, v6
	s_waitcnt lgkmcnt(0)
	ds_swizzle_b32 v1, v1 offset:swizzle(SWAP,2)
	ds_store_b16 v3, v4
	v_cndmask_b32_e64 v4, 10, 14, vcc_lo
	ds_load_u16 v3, v2
	v_cmp_eq_u32_e32 vcc_lo, 0, v10
	v_or_b32_e32 v4, v5, v4
	v_cndmask_b32_e64 v8, 8, 10, vcc_lo
	v_cndmask_b32_e64 v10, 12, 14, vcc_lo
	s_delay_alu instid0(VALU_DEP_2)
	v_or_b32_e32 v8, v5, v8
	s_waitcnt lgkmcnt(2)
	ds_store_b16 v7, v1
	ds_load_u16 v1, v4
	v_cndmask_b32_e64 v7, 4, 6, vcc_lo
	s_waitcnt lgkmcnt(2)
	ds_swizzle_b32 v3, v3 offset:swizzle(SWAP,2)
	v_or_b32_e32 v7, v5, v7
	v_or_b32_e32 v5, v5, v10
	s_waitcnt lgkmcnt(1)
	ds_swizzle_b32 v1, v1 offset:swizzle(SWAP,2)
	s_waitcnt lgkmcnt(1)
	ds_store_b16 v2, v3
	ds_load_u16 v2, v6
	ds_load_u16 v3, v7
	s_waitcnt lgkmcnt(3)
	ds_store_b16 v4, v1
	ds_load_u16 v1, v8
	ds_load_u16 v4, v5
	s_waitcnt lgkmcnt(4)
	ds_swizzle_b32 v2, v2 offset:swizzle(SWAP,1)
	s_waitcnt lgkmcnt(4)
	ds_swizzle_b32 v3, v3 offset:swizzle(SWAP,1)
	;; [unrolled: 2-line block ×4, first 2 shown]
	s_waitcnt lgkmcnt(3)
	ds_store_b16 v6, v2
	s_waitcnt lgkmcnt(3)
	ds_store_b16 v7, v3
	;; [unrolled: 2-line block ×4, first 2 shown]
	ds_load_b128 v[5:8], v9 offset:16384
.LBB6_4:
	v_lshlrev_b32_e32 v0, 1, v0
	s_waitcnt lgkmcnt(0)
	global_store_b128 v0, v[5:8], s[6:7]
	s_nop 0
	s_sendmsg sendmsg(MSG_DEALLOC_VGPRS)
	s_endpgm
	.section	.rodata,"a",@progbits
	.p2align	6, 0x0
	.amdhsa_kernel _Z20warp_exchange_kernelILj8ELj8EN6common25StripedToBlockedShuffleOpE12hip_bfloat16EvPT2_S4_b
		.amdhsa_group_segment_fixed_size 32768
		.amdhsa_private_segment_fixed_size 0
		.amdhsa_kernarg_size 20
		.amdhsa_user_sgpr_count 15
		.amdhsa_user_sgpr_dispatch_ptr 1
		.amdhsa_user_sgpr_queue_ptr 0
		.amdhsa_user_sgpr_kernarg_segment_ptr 1
		.amdhsa_user_sgpr_dispatch_id 0
		.amdhsa_user_sgpr_private_segment_size 0
		.amdhsa_wavefront_size32 1
		.amdhsa_uses_dynamic_stack 0
		.amdhsa_enable_private_segment 0
		.amdhsa_system_sgpr_workgroup_id_x 1
		.amdhsa_system_sgpr_workgroup_id_y 0
		.amdhsa_system_sgpr_workgroup_id_z 0
		.amdhsa_system_sgpr_workgroup_info 0
		.amdhsa_system_vgpr_workitem_id 2
		.amdhsa_next_free_vgpr 20
		.amdhsa_next_free_sgpr 8
		.amdhsa_reserve_vcc 1
		.amdhsa_float_round_mode_32 0
		.amdhsa_float_round_mode_16_64 0
		.amdhsa_float_denorm_mode_32 3
		.amdhsa_float_denorm_mode_16_64 3
		.amdhsa_dx10_clamp 1
		.amdhsa_ieee_mode 1
		.amdhsa_fp16_overflow 0
		.amdhsa_workgroup_processor_mode 1
		.amdhsa_memory_ordered 1
		.amdhsa_forward_progress 0
		.amdhsa_shared_vgpr_count 0
		.amdhsa_exception_fp_ieee_invalid_op 0
		.amdhsa_exception_fp_denorm_src 0
		.amdhsa_exception_fp_ieee_div_zero 0
		.amdhsa_exception_fp_ieee_overflow 0
		.amdhsa_exception_fp_ieee_underflow 0
		.amdhsa_exception_fp_ieee_inexact 0
		.amdhsa_exception_int_div_zero 0
	.end_amdhsa_kernel
	.section	.text._Z20warp_exchange_kernelILj8ELj8EN6common25StripedToBlockedShuffleOpE12hip_bfloat16EvPT2_S4_b,"axG",@progbits,_Z20warp_exchange_kernelILj8ELj8EN6common25StripedToBlockedShuffleOpE12hip_bfloat16EvPT2_S4_b,comdat
.Lfunc_end6:
	.size	_Z20warp_exchange_kernelILj8ELj8EN6common25StripedToBlockedShuffleOpE12hip_bfloat16EvPT2_S4_b, .Lfunc_end6-_Z20warp_exchange_kernelILj8ELj8EN6common25StripedToBlockedShuffleOpE12hip_bfloat16EvPT2_S4_b
                                        ; -- End function
	.section	.AMDGPU.csdata,"",@progbits
; Kernel info:
; codeLenInByte = 1320
; NumSgprs: 10
; NumVgprs: 20
; ScratchSize: 0
; MemoryBound: 0
; FloatMode: 240
; IeeeMode: 1
; LDSByteSize: 32768 bytes/workgroup (compile time only)
; SGPRBlocks: 1
; VGPRBlocks: 2
; NumSGPRsForWavesPerEU: 10
; NumVGPRsForWavesPerEU: 20
; Occupancy: 16
; WaveLimiterHint : 0
; COMPUTE_PGM_RSRC2:SCRATCH_EN: 0
; COMPUTE_PGM_RSRC2:USER_SGPR: 15
; COMPUTE_PGM_RSRC2:TRAP_HANDLER: 0
; COMPUTE_PGM_RSRC2:TGID_X_EN: 1
; COMPUTE_PGM_RSRC2:TGID_Y_EN: 0
; COMPUTE_PGM_RSRC2:TGID_Z_EN: 0
; COMPUTE_PGM_RSRC2:TIDIG_COMP_CNT: 2
	.section	.text._Z20warp_exchange_kernelILj64ELj64EN6common25StripedToBlockedShuffleOpEdEvPT2_S3_b,"axG",@progbits,_Z20warp_exchange_kernelILj64ELj64EN6common25StripedToBlockedShuffleOpEdEvPT2_S3_b,comdat
	.protected	_Z20warp_exchange_kernelILj64ELj64EN6common25StripedToBlockedShuffleOpEdEvPT2_S3_b ; -- Begin function _Z20warp_exchange_kernelILj64ELj64EN6common25StripedToBlockedShuffleOpEdEvPT2_S3_b
	.globl	_Z20warp_exchange_kernelILj64ELj64EN6common25StripedToBlockedShuffleOpEdEvPT2_S3_b
	.p2align	8
	.type	_Z20warp_exchange_kernelILj64ELj64EN6common25StripedToBlockedShuffleOpEdEvPT2_S3_b,@function
_Z20warp_exchange_kernelILj64ELj64EN6common25StripedToBlockedShuffleOpEdEvPT2_S3_b: ; @_Z20warp_exchange_kernelILj64ELj64EN6common25StripedToBlockedShuffleOpEdEvPT2_S3_b
; %bb.0:
	s_endpgm
	.section	.rodata,"a",@progbits
	.p2align	6, 0x0
	.amdhsa_kernel _Z20warp_exchange_kernelILj64ELj64EN6common25StripedToBlockedShuffleOpEdEvPT2_S3_b
		.amdhsa_group_segment_fixed_size 0
		.amdhsa_private_segment_fixed_size 0
		.amdhsa_kernarg_size 20
		.amdhsa_user_sgpr_count 15
		.amdhsa_user_sgpr_dispatch_ptr 0
		.amdhsa_user_sgpr_queue_ptr 0
		.amdhsa_user_sgpr_kernarg_segment_ptr 1
		.amdhsa_user_sgpr_dispatch_id 0
		.amdhsa_user_sgpr_private_segment_size 0
		.amdhsa_wavefront_size32 1
		.amdhsa_uses_dynamic_stack 0
		.amdhsa_enable_private_segment 0
		.amdhsa_system_sgpr_workgroup_id_x 1
		.amdhsa_system_sgpr_workgroup_id_y 0
		.amdhsa_system_sgpr_workgroup_id_z 0
		.amdhsa_system_sgpr_workgroup_info 0
		.amdhsa_system_vgpr_workitem_id 0
		.amdhsa_next_free_vgpr 1
		.amdhsa_next_free_sgpr 1
		.amdhsa_reserve_vcc 0
		.amdhsa_float_round_mode_32 0
		.amdhsa_float_round_mode_16_64 0
		.amdhsa_float_denorm_mode_32 3
		.amdhsa_float_denorm_mode_16_64 3
		.amdhsa_dx10_clamp 1
		.amdhsa_ieee_mode 1
		.amdhsa_fp16_overflow 0
		.amdhsa_workgroup_processor_mode 1
		.amdhsa_memory_ordered 1
		.amdhsa_forward_progress 0
		.amdhsa_shared_vgpr_count 0
		.amdhsa_exception_fp_ieee_invalid_op 0
		.amdhsa_exception_fp_denorm_src 0
		.amdhsa_exception_fp_ieee_div_zero 0
		.amdhsa_exception_fp_ieee_overflow 0
		.amdhsa_exception_fp_ieee_underflow 0
		.amdhsa_exception_fp_ieee_inexact 0
		.amdhsa_exception_int_div_zero 0
	.end_amdhsa_kernel
	.section	.text._Z20warp_exchange_kernelILj64ELj64EN6common25StripedToBlockedShuffleOpEdEvPT2_S3_b,"axG",@progbits,_Z20warp_exchange_kernelILj64ELj64EN6common25StripedToBlockedShuffleOpEdEvPT2_S3_b,comdat
.Lfunc_end7:
	.size	_Z20warp_exchange_kernelILj64ELj64EN6common25StripedToBlockedShuffleOpEdEvPT2_S3_b, .Lfunc_end7-_Z20warp_exchange_kernelILj64ELj64EN6common25StripedToBlockedShuffleOpEdEvPT2_S3_b
                                        ; -- End function
	.section	.AMDGPU.csdata,"",@progbits
; Kernel info:
; codeLenInByte = 4
; NumSgprs: 0
; NumVgprs: 0
; ScratchSize: 0
; MemoryBound: 0
; FloatMode: 240
; IeeeMode: 1
; LDSByteSize: 0 bytes/workgroup (compile time only)
; SGPRBlocks: 0
; VGPRBlocks: 0
; NumSGPRsForWavesPerEU: 1
; NumVGPRsForWavesPerEU: 1
; Occupancy: 16
; WaveLimiterHint : 0
; COMPUTE_PGM_RSRC2:SCRATCH_EN: 0
; COMPUTE_PGM_RSRC2:USER_SGPR: 15
; COMPUTE_PGM_RSRC2:TRAP_HANDLER: 0
; COMPUTE_PGM_RSRC2:TGID_X_EN: 1
; COMPUTE_PGM_RSRC2:TGID_Y_EN: 0
; COMPUTE_PGM_RSRC2:TGID_Z_EN: 0
; COMPUTE_PGM_RSRC2:TIDIG_COMP_CNT: 0
	.section	.text._Z20warp_exchange_kernelILj32ELj32EN6common25StripedToBlockedShuffleOpEfEvPT2_S3_b,"axG",@progbits,_Z20warp_exchange_kernelILj32ELj32EN6common25StripedToBlockedShuffleOpEfEvPT2_S3_b,comdat
	.protected	_Z20warp_exchange_kernelILj32ELj32EN6common25StripedToBlockedShuffleOpEfEvPT2_S3_b ; -- Begin function _Z20warp_exchange_kernelILj32ELj32EN6common25StripedToBlockedShuffleOpEfEvPT2_S3_b
	.globl	_Z20warp_exchange_kernelILj32ELj32EN6common25StripedToBlockedShuffleOpEfEvPT2_S3_b
	.p2align	8
	.type	_Z20warp_exchange_kernelILj32ELj32EN6common25StripedToBlockedShuffleOpEfEvPT2_S3_b,@function
_Z20warp_exchange_kernelILj32ELj32EN6common25StripedToBlockedShuffleOpEfEvPT2_S3_b: ; @_Z20warp_exchange_kernelILj32ELj32EN6common25StripedToBlockedShuffleOpEfEvPT2_S3_b
; %bb.0:
	s_load_b128 s[4:7], s[0:1], 0x0
	v_lshlrev_b32_e32 v1, 7, v0
	s_load_b32 s0, s[0:1], 0x10
	v_lshlrev_b32_e32 v0, 5, v0
	v_mbcnt_lo_u32_b32 v65, -1, 0
	s_mov_b32 s3, 0
	s_waitcnt lgkmcnt(0)
	s_clause 0x7
	global_load_b128 v[29:32], v1, s[4:5]
	global_load_b128 v[25:28], v1, s[4:5] offset:16
	global_load_b128 v[21:24], v1, s[4:5] offset:32
	;; [unrolled: 1-line block ×7, first 2 shown]
	s_bitcmp0_b32 s0, 0
	s_cbranch_scc0 .LBB8_2
; %bb.1:
	v_and_b32_e32 v33, 16, v65
	s_waitcnt vmcnt(7)
	scratch_store_b128 off, v[29:32], off
	s_waitcnt vmcnt(6)
	scratch_store_b128 off, v[25:28], off offset:16
	s_waitcnt vmcnt(5)
	scratch_store_b128 off, v[21:24], off offset:32
	;; [unrolled: 2-line block ×4, first 2 shown]
	v_mov_b32_e32 v41, 0x68
	v_mov_b32_e32 v47, 0x74
	;; [unrolled: 1-line block ×3, first 2 shown]
	v_lshlrev_b32_e32 v34, 2, v33
	v_cmp_eq_u32_e32 vcc_lo, 0, v33
	s_delay_alu instid0(VALU_DEP_2)
	v_xor_b32_e32 v34, 64, v34
	v_cndmask_b32_e64 v33, 4, 0x44, vcc_lo
	v_cndmask_b32_e64 v38, 40, 0x68, vcc_lo
	;; [unrolled: 1-line block ×3, first 2 shown]
	scratch_load_b32 v35, v34, off
	s_waitcnt vmcnt(0)
	ds_swizzle_b32 v35, v35 offset:swizzle(SWAP,16)
	s_waitcnt lgkmcnt(0)
	scratch_store_b32 v34, v35, off
	scratch_load_b32 v34, v33, off
	v_cndmask_b32_e64 v35, 8, 0x48, vcc_lo
	s_waitcnt vmcnt(0)
	ds_swizzle_b32 v34, v34 offset:swizzle(SWAP,16)
	s_waitcnt lgkmcnt(0)
	scratch_store_b32 v33, v34, off
	scratch_load_b32 v33, v35, off
	v_cndmask_b32_e64 v34, 12, 0x4c, vcc_lo
	;; [unrolled: 6-line block ×3, first 2 shown]
	s_waitcnt vmcnt(0)
	ds_swizzle_b32 v33, v33 offset:swizzle(SWAP,16)
	scratch_store_b128 off, v[9:12], off offset:80
	s_waitcnt lgkmcnt(0)
	scratch_store_b32 v34, v33, off
	scratch_load_b32 v33, v35, off
	v_cndmask_b32_e64 v34, 20, 0x54, vcc_lo
	s_waitcnt vmcnt(0)
	ds_swizzle_b32 v33, v33 offset:swizzle(SWAP,16)
	s_waitcnt lgkmcnt(0)
	scratch_store_b32 v35, v33, off
	scratch_load_b32 v33, v34, off
	v_cndmask_b32_e64 v35, 24, 0x58, vcc_lo
	s_waitcnt vmcnt(0)
	ds_swizzle_b32 v33, v33 offset:swizzle(SWAP,16)
	;; [unrolled: 6-line block ×4, first 2 shown]
	scratch_store_b128 off, v[5:8], off offset:96
	s_waitcnt lgkmcnt(0)
	scratch_store_b32 v34, v33, off
	scratch_load_b32 v33, v35, off
	v_cndmask_b32_e64 v34, 36, 0x64, vcc_lo
	s_waitcnt vmcnt(0)
	ds_swizzle_b32 v33, v33 offset:swizzle(SWAP,16)
	s_waitcnt lgkmcnt(0)
	scratch_store_b32 v35, v33, off
	scratch_load_b32 v33, v34, off
	v_and_b32_e32 v35, 8, v65
	s_delay_alu instid0(VALU_DEP_1) | instskip(SKIP_1) | instid1(VALU_DEP_2)
	v_lshlrev_b32_e32 v36, 2, v35
	v_cmp_eq_u32_e64 s0, 0, v35
	v_xor_b32_e32 v36, 32, v36
	s_delay_alu instid0(VALU_DEP_2)
	v_cndmask_b32_e64 v39, 20, 52, s0
	v_cndmask_b32_e64 v42, 0x48, v41, s0
	;; [unrolled: 1-line block ×3, first 2 shown]
	scratch_load_b32 v37, v36, off
	s_waitcnt vmcnt(1)
	ds_swizzle_b32 v33, v33 offset:swizzle(SWAP,16)
	s_waitcnt vmcnt(0)
	ds_swizzle_b32 v37, v37 offset:swizzle(SWAP,8)
	s_waitcnt lgkmcnt(1)
	scratch_store_b32 v34, v33, off
	scratch_load_b32 v33, v38, off
	v_cndmask_b32_e64 v34, 4, 36, s0
	s_waitcnt vmcnt(0)
	ds_swizzle_b32 v33, v33 offset:swizzle(SWAP,16)
	s_waitcnt lgkmcnt(1)
	scratch_store_b32 v36, v37, off
	scratch_load_b32 v35, v34, off
	v_cndmask_b32_e64 v36, 44, 0x6c, vcc_lo
	v_cndmask_b32_e64 v37, 8, 40, s0
	s_waitcnt lgkmcnt(0)
	scratch_store_b32 v38, v33, off
	scratch_load_b32 v33, v36, off
	s_waitcnt vmcnt(1)
	ds_swizzle_b32 v35, v35 offset:swizzle(SWAP,8)
	s_waitcnt vmcnt(0)
	ds_swizzle_b32 v33, v33 offset:swizzle(SWAP,16)
	s_waitcnt lgkmcnt(1)
	scratch_store_b32 v34, v35, off
	scratch_load_b32 v34, v37, off
	v_cndmask_b32_e64 v35, 48, 0x70, vcc_lo
	scratch_store_b128 off, v[1:4], off offset:112
	s_waitcnt lgkmcnt(0)
	scratch_store_b32 v36, v33, off
	scratch_load_b32 v33, v35, off
	v_cndmask_b32_e64 v36, 12, 44, s0
	s_waitcnt vmcnt(1)
	ds_swizzle_b32 v34, v34 offset:swizzle(SWAP,8)
	s_waitcnt lgkmcnt(0)
	scratch_store_b32 v37, v34, off
	scratch_load_b32 v34, v36, off
	s_waitcnt vmcnt(1)
	ds_swizzle_b32 v33, v33 offset:swizzle(SWAP,16)
	v_cndmask_b32_e64 v37, 52, 0x74, vcc_lo
	s_waitcnt vmcnt(0)
	ds_swizzle_b32 v34, v34 offset:swizzle(SWAP,8)
	s_waitcnt lgkmcnt(1)
	scratch_store_b32 v35, v33, off
	scratch_load_b32 v33, v37, off
	v_cndmask_b32_e64 v35, 16, 48, s0
	s_waitcnt vmcnt(0)
	ds_swizzle_b32 v33, v33 offset:swizzle(SWAP,16)
	s_waitcnt lgkmcnt(1)
	scratch_store_b32 v36, v34, off
	scratch_load_b32 v34, v35, off
	v_cndmask_b32_e64 v36, 56, 0x78, vcc_lo
	s_waitcnt lgkmcnt(0)
	scratch_store_b32 v37, v33, off
	scratch_load_b32 v33, v36, off
	v_and_b32_e32 v37, 4, v65
	s_delay_alu instid0(VALU_DEP_1) | instskip(SKIP_1) | instid1(VALU_DEP_2)
	v_lshlrev_b32_e32 v38, 2, v37
	v_cmp_eq_u32_e32 vcc_lo, 0, v37
	v_xor_b32_e32 v38, 16, v38
	v_cndmask_b32_e64 v37, 4, 20, vcc_lo
	v_cndmask_b32_e32 v59, 0x64, v47, vcc_lo
	s_waitcnt vmcnt(1)
	ds_swizzle_b32 v34, v34 offset:swizzle(SWAP,8)
	s_waitcnt vmcnt(0)
	ds_swizzle_b32 v33, v33 offset:swizzle(SWAP,16)
	s_waitcnt lgkmcnt(1)
	scratch_store_b32 v35, v34, off
	s_clause 0x1
	scratch_load_b32 v34, v39, off
	scratch_load_b32 v35, v38, off
	s_waitcnt vmcnt(1)
	ds_swizzle_b32 v34, v34 offset:swizzle(SWAP,8)
	s_waitcnt vmcnt(0)
	ds_swizzle_b32 v35, v35 offset:swizzle(SWAP,4)
	s_waitcnt lgkmcnt(2)
	scratch_store_b32 v36, v33, off
	scratch_load_b32 v33, v40, off
	v_cndmask_b32_e64 v36, 24, 56, s0
	s_waitcnt lgkmcnt(0)
	scratch_store_b32 v38, v35, off
	v_cndmask_b32_e64 v38, 64, 0x60, s0
	s_waitcnt vmcnt(0)
	ds_swizzle_b32 v33, v33 offset:swizzle(SWAP,16)
	scratch_store_b32 v39, v34, off
	s_clause 0x1
	scratch_load_b32 v34, v36, off
	scratch_load_b32 v35, v37, off
	v_cndmask_b32_e64 v39, 28, 60, s0
	s_waitcnt lgkmcnt(0)
	scratch_store_b32 v40, v33, off
	scratch_load_b32 v33, v38, off
	v_cndmask_b32_e64 v40, 8, 24, vcc_lo
	s_waitcnt vmcnt(2)
	ds_swizzle_b32 v34, v34 offset:swizzle(SWAP,8)
	s_waitcnt vmcnt(1)
	ds_swizzle_b32 v35, v35 offset:swizzle(SWAP,4)
	;; [unrolled: 2-line block ×3, first 2 shown]
	s_waitcnt lgkmcnt(2)
	scratch_store_b32 v36, v34, off
	s_waitcnt lgkmcnt(1)
	scratch_store_b32 v37, v35, off
	s_clause 0x1
	scratch_load_b32 v34, v39, off
	scratch_load_b32 v35, v40, off
	v_mov_b32_e32 v37, 0x64
	s_delay_alu instid0(VALU_DEP_1)
	v_cndmask_b32_e64 v36, 0x44, v37, s0
	s_waitcnt vmcnt(1)
	ds_swizzle_b32 v34, v34 offset:swizzle(SWAP,8)
	s_waitcnt lgkmcnt(1)
	scratch_store_b32 v38, v33, off
	scratch_load_b32 v33, v36, off
	s_waitcnt vmcnt(1)
	ds_swizzle_b32 v35, v35 offset:swizzle(SWAP,4)
	v_cndmask_b32_e64 v38, 12, 28, vcc_lo
	s_waitcnt lgkmcnt(1)
	scratch_store_b32 v39, v34, off
	v_and_b32_e32 v34, 2, v65
	s_waitcnt lgkmcnt(0)
	scratch_store_b32 v40, v35, off
	scratch_load_b32 v35, v38, off
	v_lshlrev_b32_e32 v39, 2, v34
	v_cmp_eq_u32_e64 s1, 0, v34
	s_delay_alu instid0(VALU_DEP_2) | instskip(NEXT) | instid1(VALU_DEP_2)
	v_xor_b32_e32 v39, 8, v39
	v_cndmask_b32_e64 v34, 4, 12, s1
	v_cndmask_b32_e64 v53, 36, 44, s1
	;; [unrolled: 1-line block ×4, first 2 shown]
	v_or_b32_e32 v39, 0, v39
	v_or_b32_e32 v34, 0, v34
	v_cndmask_b32_e64 v41, 0x60, v41, s1
	scratch_load_b32 v40, v39, off
	s_waitcnt vmcnt(2)
	ds_swizzle_b32 v33, v33 offset:swizzle(SWAP,8)
	s_waitcnt lgkmcnt(0)
	scratch_store_b32 v36, v33, off
	scratch_load_b32 v33, v42, off
	v_cndmask_b32_e64 v36, 32, 48, vcc_lo
	s_waitcnt vmcnt(2)
	ds_swizzle_b32 v35, v35 offset:swizzle(SWAP,4)
	scratch_load_b32 v43, v36, off
	s_waitcnt vmcnt(2)
	ds_swizzle_b32 v40, v40 offset:swizzle(SWAP,2)
	s_waitcnt lgkmcnt(1)
	scratch_store_b32 v38, v35, off
	s_waitcnt lgkmcnt(0)
	scratch_store_b32 v39, v40, off
	v_mov_b32_e32 v38, 0x6c
	scratch_load_b32 v35, v34, off
	v_cndmask_b32_e64 v39, 0x4c, v38, s0
	s_waitcnt vmcnt(2)
	ds_swizzle_b32 v33, v33 offset:swizzle(SWAP,8)
	s_waitcnt vmcnt(1)
	ds_swizzle_b32 v40, v43 offset:swizzle(SWAP,4)
	v_and_b32_e32 v43, 1, v65
	s_delay_alu instid0(VALU_DEP_1) | instskip(SKIP_1) | instid1(VALU_DEP_2)
	v_cmp_eq_u32_e64 s2, 0, v43
	v_lshlrev_b32_e32 v45, 2, v43
	v_cndmask_b32_e64 v43, 8, 12, s2
	s_delay_alu instid0(VALU_DEP_2)
	v_xor_b32_e32 v45, 4, v45
	v_cndmask_b32_e64 v50, 16, 20, s2
	s_waitcnt lgkmcnt(1)
	scratch_store_b32 v42, v33, off
	scratch_load_b32 v33, v39, off
	v_cndmask_b32_e64 v42, 36, 52, vcc_lo
	v_or_b32_e32 v43, 0, v43
	v_or_b32_e32 v45, 0, v45
	v_cndmask_b32_e64 v57, 32, 36, s2
	s_waitcnt lgkmcnt(0)
	scratch_store_b32 v36, v40, off
	v_cndmask_b32_e64 v40, 16, 24, s1
	scratch_load_b32 v36, v42, off
	v_cndmask_b32_e64 v62, 48, 52, s2
	v_cndmask_b32_e64 v67, 0x70, v47, s2
	scratch_load_b32 v44, v40, off
	s_waitcnt vmcnt(3)
	ds_swizzle_b32 v35, v35 offset:swizzle(SWAP,2)
	s_waitcnt vmcnt(2)
	ds_swizzle_b32 v33, v33 offset:swizzle(SWAP,8)
	s_waitcnt lgkmcnt(1)
	scratch_store_b32 v34, v35, off
	v_mov_b32_e32 v35, 0x70
	scratch_load_b32 v34, v45, off
	v_cndmask_b32_e64 v46, 0x50, v35, s0
	s_waitcnt vmcnt(2)
	ds_swizzle_b32 v36, v36 offset:swizzle(SWAP,4)
	v_cndmask_b32_e32 v35, 0x60, v35, vcc_lo
	s_waitcnt vmcnt(1)
	ds_swizzle_b32 v44, v44 offset:swizzle(SWAP,2)
	s_waitcnt lgkmcnt(2)
	scratch_store_b32 v39, v33, off
	scratch_load_b32 v33, v46, off
	v_cndmask_b32_e64 v39, 40, 56, vcc_lo
	s_waitcnt lgkmcnt(1)
	scratch_store_b32 v42, v36, off
	v_cndmask_b32_e64 v42, 20, 28, s1
	scratch_load_b32 v36, v39, off
	s_waitcnt lgkmcnt(0)
	scratch_store_b32 v40, v44, off
	scratch_load_b32 v44, v43, off
	s_waitcnt vmcnt(2)
	ds_swizzle_b32 v33, v33 offset:swizzle(SWAP,8)
	s_waitcnt lgkmcnt(0)
	scratch_store_b32 v46, v33, off
	s_clause 0x1
	scratch_load_b32 v33, v48, off
	scratch_load_b32 v40, v42, off
	s_waitcnt vmcnt(3)
	ds_swizzle_b32 v36, v36 offset:swizzle(SWAP,4)
	v_cndmask_b32_e64 v46, 44, 60, vcc_lo
	ds_swizzle_b32 v34, v34 offset:swizzle(SWAP,1)
	s_waitcnt vmcnt(1)
	ds_swizzle_b32 v33, v33 offset:swizzle(SWAP,8)
	s_waitcnt vmcnt(0)
	ds_swizzle_b32 v40, v40 offset:swizzle(SWAP,2)
	s_waitcnt lgkmcnt(3)
	scratch_store_b32 v39, v36, off
	v_cndmask_b32_e64 v39, 32, 40, s1
	s_clause 0x1
	scratch_load_b32 v36, v46, off
	scratch_load_b32 v49, v39, off
	ds_swizzle_b32 v44, v44 offset:swizzle(SWAP,1)
	s_waitcnt lgkmcnt(2)
	scratch_store_b32 v48, v33, off
	s_waitcnt lgkmcnt(1)
	scratch_store_b32 v42, v40, off
	v_mov_b32_e32 v42, 0x78
	scratch_load_b32 v40, v50, off
	v_cndmask_b32_e64 v48, 64, 0x50, vcc_lo
	v_cndmask_b32_e64 v51, 0x58, v42, s0
	s_clause 0x1
	scratch_load_b32 v33, v51, off
	scratch_load_b32 v52, v48, off
	s_waitcnt vmcnt(4)
	ds_swizzle_b32 v36, v36 offset:swizzle(SWAP,4)
	s_waitcnt vmcnt(3)
	ds_swizzle_b32 v49, v49 offset:swizzle(SWAP,2)
	s_waitcnt lgkmcnt(1)
	scratch_store_b32 v46, v36, off
	s_waitcnt lgkmcnt(0)
	scratch_store_b32 v39, v49, off
	v_mov_b32_e32 v49, 0x7c
	scratch_load_b32 v36, v53, off
	v_cndmask_b32_e64 v39, 24, 28, s2
	s_waitcnt vmcnt(3)
	ds_swizzle_b32 v40, v40 offset:swizzle(SWAP,1)
	s_waitcnt vmcnt(2)
	ds_swizzle_b32 v33, v33 offset:swizzle(SWAP,8)
	v_cndmask_b32_e64 v54, 0x5c, v49, s0
	s_waitcnt vmcnt(1)
	ds_swizzle_b32 v52, v52 offset:swizzle(SWAP,4)
	s_waitcnt lgkmcnt(1)
	scratch_store_b32 v51, v33, off
	scratch_load_b32 v33, v54, off
	s_waitcnt lgkmcnt(0)
	scratch_store_b32 v48, v52, off
	v_mov_b32_e32 v51, 0x54
	v_cndmask_b32_e64 v48, 48, 56, s1
	scratch_load_b32 v46, v39, off
	v_cndmask_b32_e32 v55, 0x44, v51, vcc_lo
	s_clause 0x1
	scratch_load_b32 v52, v55, off
	scratch_load_b32 v56, v48, off
	s_waitcnt vmcnt(4)
	ds_swizzle_b32 v36, v36 offset:swizzle(SWAP,2)
	s_waitcnt vmcnt(3)
	ds_swizzle_b32 v33, v33 offset:swizzle(SWAP,8)
	;; [unrolled: 2-line block ×4, first 2 shown]
	s_waitcnt lgkmcnt(3)
	scratch_store_b32 v53, v36, off
	s_waitcnt vmcnt(0)
	ds_swizzle_b32 v53, v56 offset:swizzle(SWAP,2)
	scratch_load_b32 v36, v57, off
	s_waitcnt lgkmcnt(3)
	scratch_store_b32 v54, v33, off
	scratch_load_b32 v33, v35, off
	v_mov_b32_e32 v54, 0x58
	s_delay_alu instid0(VALU_DEP_1)
	v_cndmask_b32_e32 v56, 0x48, v54, vcc_lo
	s_waitcnt lgkmcnt(1)
	scratch_store_b32 v55, v52, off
	scratch_load_b32 v52, v56, off
	s_waitcnt lgkmcnt(0)
	scratch_store_b32 v48, v53, off
	v_cndmask_b32_e64 v53, 40, 44, s2
	scratch_load_b32 v48, v53, off
	s_waitcnt vmcnt(3)
	ds_swizzle_b32 v55, v36 offset:swizzle(SWAP,1)
	scratch_load_b32 v36, v58, off
	s_waitcnt vmcnt(3)
	ds_swizzle_b32 v33, v33 offset:swizzle(SWAP,4)
	s_waitcnt vmcnt(2)
	ds_swizzle_b32 v52, v52 offset:swizzle(SWAP,4)
	;; [unrolled: 2-line block ×3, first 2 shown]
	v_cndmask_b32_e32 v48, 0x68, v42, vcc_lo
	s_waitcnt lgkmcnt(2)
	scratch_store_b32 v35, v33, off
	scratch_load_b32 v33, v59, off
	v_cndmask_b32_e32 v35, 0x4c, v60, vcc_lo
	v_cndmask_b32_e64 v42, 0x70, v42, s1
	s_waitcnt lgkmcnt(1)
	scratch_store_b32 v56, v52, off
	s_clause 0x1
	scratch_load_b32 v52, v35, off
	scratch_load_b32 v56, v61, off
	s_waitcnt vmcnt(3)
	ds_swizzle_b32 v36, v36 offset:swizzle(SWAP,2)
	s_waitcnt vmcnt(2)
	ds_swizzle_b32 v33, v33 offset:swizzle(SWAP,4)
	;; [unrolled: 2-line block ×3, first 2 shown]
	s_waitcnt lgkmcnt(2)
	scratch_store_b32 v58, v36, off
	s_waitcnt vmcnt(0)
	ds_swizzle_b32 v56, v56 offset:swizzle(SWAP,2)
	scratch_load_b32 v36, v62, off
	s_waitcnt lgkmcnt(2)
	scratch_store_b32 v59, v33, off
	scratch_load_b32 v58, v48, off
	v_mov_b32_e32 v59, 0x4c
	s_delay_alu instid0(VALU_DEP_1)
	v_cndmask_b32_e64 v64, 0x44, v59, s1
	v_cndmask_b32_e64 v59, 0x48, v59, s2
	s_waitcnt lgkmcnt(1)
	scratch_store_b32 v35, v52, off
	s_waitcnt lgkmcnt(0)
	scratch_store_b32 v61, v56, off
	scratch_load_b32 v56, v64, off
	v_cndmask_b32_e64 v61, 56, 60, s2
	scratch_load_b32 v66, v61, off
	s_clause 0x1
	scratch_store_b32 v45, v34, off
	scratch_store_b32 v43, v44, off
	v_cndmask_b32_e32 v44, 0x6c, v49, vcc_lo
	s_waitcnt vmcnt(3)
	ds_swizzle_b32 v52, v36 offset:swizzle(SWAP,1)
	scratch_load_b128 v[33:36], off, off
	s_waitcnt vmcnt(3)
	ds_swizzle_b32 v43, v58 offset:swizzle(SWAP,4)
	v_cndmask_b32_e64 v58, 64, 0x44, s2
	s_waitcnt vmcnt(2)
	ds_swizzle_b32 v45, v56 offset:swizzle(SWAP,2)
	s_waitcnt vmcnt(1)
	ds_swizzle_b32 v66, v66 offset:swizzle(SWAP,1)
	s_waitcnt lgkmcnt(2)
	scratch_store_b32 v48, v43, off
	scratch_load_b32 v43, v44, off
	v_cndmask_b32_e64 v48, 0x50, v54, s1
	s_clause 0x1
	scratch_load_b32 v56, v41, off
	scratch_load_b32 v54, v48, off
	s_waitcnt lgkmcnt(1)
	scratch_store_b32 v64, v45, off
	scratch_load_b32 v45, v58, off
	v_cndmask_b32_e64 v64, 0x64, v38, s1
	s_waitcnt vmcnt(3)
	ds_swizzle_b32 v43, v43 offset:swizzle(SWAP,4)
	s_waitcnt vmcnt(0)
	ds_swizzle_b32 v45, v45 offset:swizzle(SWAP,1)
	s_waitcnt lgkmcnt(1)
	scratch_store_b32 v44, v43, off
	scratch_load_b32 v43, v42, off
	ds_swizzle_b32 v54, v54 offset:swizzle(SWAP,2)
	v_cndmask_b32_e64 v44, 0x54, v60, s1
	ds_swizzle_b32 v56, v56 offset:swizzle(SWAP,2)
	s_waitcnt lgkmcnt(1)
	scratch_store_b32 v48, v54, off
	s_clause 0x1
	scratch_load_b32 v48, v44, off
	scratch_load_b32 v54, v59, off
	s_waitcnt vmcnt(2)
	ds_swizzle_b32 v43, v43 offset:swizzle(SWAP,2)
	s_waitcnt lgkmcnt(1)
	scratch_store_b32 v41, v56, off
	v_cndmask_b32_e64 v56, 0x74, v49, s1
	scratch_load_b32 v41, v64, off
	v_cndmask_b32_e64 v49, 0x78, v49, s2
	s_waitcnt vmcnt(2)
	ds_swizzle_b32 v48, v48 offset:swizzle(SWAP,2)
	s_waitcnt lgkmcnt(1)
	scratch_store_b32 v42, v43, off
	scratch_load_b32 v42, v56, off
	v_cndmask_b32_e64 v43, 0x50, v51, s2
	v_cndmask_b32_e64 v51, 0x60, v37, s2
	s_waitcnt vmcnt(2)
	ds_swizzle_b32 v54, v54 offset:swizzle(SWAP,1)
	s_waitcnt vmcnt(1)
	ds_swizzle_b32 v41, v41 offset:swizzle(SWAP,2)
	s_waitcnt lgkmcnt(2)
	scratch_store_b32 v44, v48, off
	scratch_load_b32 v44, v43, off
	v_cndmask_b32_e64 v48, 0x58, v60, s2
	v_cndmask_b32_e64 v60, 0x68, v38, s2
	s_waitcnt lgkmcnt(0)
	scratch_store_b32 v64, v41, off
	s_waitcnt vmcnt(1)
	ds_swizzle_b32 v42, v42 offset:swizzle(SWAP,2)
	s_clause 0x2
	scratch_load_b32 v37, v48, off
	scratch_load_b32 v38, v51, off
	;; [unrolled: 1-line block ×3, first 2 shown]
	s_waitcnt lgkmcnt(0)
	scratch_store_b32 v56, v42, off
	s_clause 0x1
	scratch_load_b32 v42, v67, off
	scratch_load_b32 v47, v49, off
	s_clause 0x1
	scratch_store_b32 v50, v40, off
	scratch_store_b32 v39, v46, off
	s_waitcnt vmcnt(5)
	ds_swizzle_b32 v44, v44 offset:swizzle(SWAP,1)
	s_waitcnt vmcnt(4)
	ds_swizzle_b32 v56, v37 offset:swizzle(SWAP,1)
	;; [unrolled: 2-line block ×4, first 2 shown]
	scratch_load_b128 v[37:40], off, off offset:16
	s_clause 0x2
	scratch_store_b32 v61, v66, off
	scratch_store_b32 v58, v45, off
	;; [unrolled: 1-line block ×3, first 2 shown]
	s_waitcnt lgkmcnt(3)
	scratch_store_b32 v43, v44, off
	s_waitcnt lgkmcnt(2)
	scratch_store_b32 v48, v56, off
	s_waitcnt lgkmcnt(1)
	s_clause 0x1
	scratch_store_b32 v51, v64, off
	scratch_store_b32 v57, v55, off
	s_waitcnt lgkmcnt(0)
	scratch_store_b32 v60, v41, off
	s_waitcnt vmcnt(2)
	ds_swizzle_b32 v50, v42 offset:swizzle(SWAP,1)
	s_waitcnt vmcnt(1)
	ds_swizzle_b32 v68, v47 offset:swizzle(SWAP,1)
	s_clause 0x1
	scratch_load_b128 v[41:44], off, off offset:64
	scratch_load_b128 v[45:48], off, off offset:80
	s_clause 0x1
	scratch_store_b32 v53, v63, off
	scratch_store_b32 v62, v52, off
	s_clause 0x1
	scratch_load_b128 v[61:64], off, off offset:32
	scratch_load_b128 v[57:60], off, off offset:48
	s_waitcnt lgkmcnt(1)
	scratch_store_b32 v67, v50, off
	s_waitcnt lgkmcnt(0)
	scratch_store_b32 v49, v68, off
	s_clause 0x1
	scratch_load_b128 v[53:56], off, off offset:96
	scratch_load_b128 v[49:52], off, off offset:112
	s_and_not1_b32 vcc_lo, exec_lo, s3
	s_cbranch_vccz .LBB8_3
	s_branch .LBB8_4
.LBB8_2:
                                        ; implicit-def: $vgpr52
                                        ; implicit-def: $vgpr56
                                        ; implicit-def: $vgpr48
                                        ; implicit-def: $vgpr44
                                        ; implicit-def: $vgpr60
                                        ; implicit-def: $vgpr64
                                        ; implicit-def: $vgpr40
                                        ; implicit-def: $vgpr36
.LBB8_3:
	v_and_b32_e32 v33, 16, v65
	s_waitcnt vmcnt(7)
	scratch_store_b128 off, v[29:32], off
	s_waitcnt vmcnt(6)
	scratch_store_b128 off, v[25:28], off offset:16
	s_waitcnt vmcnt(5)
	scratch_store_b128 off, v[21:24], off offset:32
	;; [unrolled: 2-line block ×4, first 2 shown]
	v_lshlrev_b32_e32 v34, 2, v33
	v_cmp_eq_u32_e32 vcc_lo, 0, v33
	s_delay_alu instid0(VALU_DEP_2)
	v_xor_b32_e32 v34, 64, v34
	v_cndmask_b32_e64 v14, 4, 0x44, vcc_lo
	v_cndmask_b32_e64 v15, 8, 0x48, vcc_lo
	scratch_load_b32 v13, v34, off
	s_waitcnt vmcnt(0)
	ds_swizzle_b32 v13, v13 offset:swizzle(SWAP,16)
	s_waitcnt lgkmcnt(0)
	scratch_store_b32 v34, v13, off
	scratch_load_b32 v13, v14, off
	s_waitcnt vmcnt(0)
	ds_swizzle_b32 v13, v13 offset:swizzle(SWAP,16)
	s_waitcnt lgkmcnt(0)
	scratch_store_b32 v14, v13, off
	scratch_load_b32 v13, v15, off
	v_cndmask_b32_e64 v14, 12, 0x4c, vcc_lo
	s_waitcnt vmcnt(0)
	ds_swizzle_b32 v13, v13 offset:swizzle(SWAP,16)
	s_waitcnt lgkmcnt(0)
	scratch_store_b32 v15, v13, off
	scratch_load_b32 v13, v14, off
	v_cndmask_b32_e64 v15, 16, 0x50, vcc_lo
	s_waitcnt vmcnt(0)
	ds_swizzle_b32 v13, v13 offset:swizzle(SWAP,16)
	scratch_store_b128 off, v[9:12], off offset:80
	s_waitcnt lgkmcnt(0)
	scratch_store_b32 v14, v13, off
	scratch_load_b32 v9, v15, off
	v_cndmask_b32_e64 v10, 20, 0x54, vcc_lo
	v_cndmask_b32_e64 v11, 24, 0x58, vcc_lo
	s_waitcnt vmcnt(0)
	ds_swizzle_b32 v9, v9 offset:swizzle(SWAP,16)
	s_waitcnt lgkmcnt(0)
	scratch_store_b32 v15, v9, off
	scratch_load_b32 v9, v10, off
	v_mov_b32_e32 v15, 0x74
	s_waitcnt vmcnt(0)
	ds_swizzle_b32 v9, v9 offset:swizzle(SWAP,16)
	s_waitcnt lgkmcnt(0)
	scratch_store_b32 v10, v9, off
	scratch_load_b32 v9, v11, off
	v_cndmask_b32_e64 v10, 28, 0x5c, vcc_lo
	s_waitcnt vmcnt(0)
	ds_swizzle_b32 v9, v9 offset:swizzle(SWAP,16)
	s_waitcnt lgkmcnt(0)
	scratch_store_b32 v11, v9, off
	scratch_load_b32 v9, v10, off
	v_cndmask_b32_e64 v11, 32, 0x60, vcc_lo
	s_waitcnt vmcnt(0)
	ds_swizzle_b32 v9, v9 offset:swizzle(SWAP,16)
	scratch_store_b128 off, v[5:8], off offset:96
	s_waitcnt lgkmcnt(0)
	scratch_store_b32 v10, v9, off
	scratch_load_b32 v5, v11, off
	v_cndmask_b32_e64 v6, 36, 0x64, vcc_lo
	v_and_b32_e32 v7, 8, v65
	v_cndmask_b32_e64 v10, 40, 0x68, vcc_lo
	s_delay_alu instid0(VALU_DEP_2) | instskip(SKIP_1) | instid1(VALU_DEP_2)
	v_lshlrev_b32_e32 v8, 2, v7
	v_cmp_eq_u32_e64 s0, 0, v7
	v_xor_b32_e32 v8, 32, v8
	s_delay_alu instid0(VALU_DEP_2)
	v_cndmask_b32_e64 v16, 0x54, v15, s0
	s_waitcnt vmcnt(0)
	ds_swizzle_b32 v5, v5 offset:swizzle(SWAP,16)
	s_waitcnt lgkmcnt(0)
	scratch_store_b32 v11, v5, off
	s_clause 0x1
	scratch_load_b32 v5, v6, off
	scratch_load_b32 v9, v8, off
	s_waitcnt vmcnt(1)
	ds_swizzle_b32 v5, v5 offset:swizzle(SWAP,16)
	s_waitcnt vmcnt(0)
	ds_swizzle_b32 v9, v9 offset:swizzle(SWAP,8)
	s_waitcnt lgkmcnt(1)
	scratch_store_b32 v6, v5, off
	scratch_load_b32 v5, v10, off
	v_cndmask_b32_e64 v6, 4, 36, s0
	s_waitcnt vmcnt(0)
	ds_swizzle_b32 v5, v5 offset:swizzle(SWAP,16)
	s_waitcnt lgkmcnt(1)
	scratch_store_b32 v8, v9, off
	scratch_load_b32 v7, v6, off
	v_cndmask_b32_e64 v8, 44, 0x6c, vcc_lo
	v_cndmask_b32_e64 v9, 8, 40, s0
	s_waitcnt lgkmcnt(0)
	scratch_store_b32 v10, v5, off
	scratch_load_b32 v5, v8, off
	s_waitcnt vmcnt(1)
	ds_swizzle_b32 v7, v7 offset:swizzle(SWAP,8)
	s_waitcnt vmcnt(0)
	ds_swizzle_b32 v5, v5 offset:swizzle(SWAP,16)
	s_waitcnt lgkmcnt(1)
	scratch_store_b32 v6, v7, off
	scratch_load_b32 v6, v9, off
	v_cndmask_b32_e64 v7, 48, 0x70, vcc_lo
	scratch_store_b128 off, v[1:4], off offset:112
	s_waitcnt lgkmcnt(0)
	scratch_store_b32 v8, v5, off
	scratch_load_b32 v1, v7, off
	v_cndmask_b32_e64 v2, 12, 44, s0
	v_cndmask_b32_e64 v4, 52, 0x74, vcc_lo
	v_cndmask_b32_e64 v5, 16, 48, s0
	v_cndmask_b32_e64 v8, 60, 0x7c, vcc_lo
	s_waitcnt vmcnt(1)
	ds_swizzle_b32 v6, v6 offset:swizzle(SWAP,8)
	s_waitcnt vmcnt(0)
	ds_swizzle_b32 v1, v1 offset:swizzle(SWAP,16)
	s_waitcnt lgkmcnt(1)
	scratch_store_b32 v9, v6, off
	scratch_load_b32 v3, v2, off
	v_mov_b32_e32 v9, 0x68
	s_delay_alu instid0(VALU_DEP_1)
	v_cndmask_b32_e64 v10, 0x48, v9, s0
	s_waitcnt lgkmcnt(0)
	scratch_store_b32 v7, v1, off
	scratch_load_b32 v1, v4, off
	v_cndmask_b32_e64 v7, 20, 52, s0
	s_waitcnt vmcnt(1)
	ds_swizzle_b32 v3, v3 offset:swizzle(SWAP,8)
	s_waitcnt vmcnt(0)
	ds_swizzle_b32 v1, v1 offset:swizzle(SWAP,16)
	s_waitcnt lgkmcnt(1)
	scratch_store_b32 v2, v3, off
	scratch_load_b32 v2, v5, off
	v_cndmask_b32_e64 v3, 56, 0x78, vcc_lo
	s_waitcnt lgkmcnt(0)
	scratch_store_b32 v4, v1, off
	scratch_load_b32 v1, v3, off
	v_and_b32_e32 v4, 4, v65
	s_delay_alu instid0(VALU_DEP_1) | instskip(SKIP_1) | instid1(VALU_DEP_2)
	v_lshlrev_b32_e32 v6, 2, v4
	v_cmp_eq_u32_e32 vcc_lo, 0, v4
	v_xor_b32_e32 v6, 16, v6
	v_cndmask_b32_e64 v4, 4, 20, vcc_lo
	v_cndmask_b32_e32 v27, 0x64, v15, vcc_lo
	s_waitcnt vmcnt(1)
	ds_swizzle_b32 v2, v2 offset:swizzle(SWAP,8)
	s_waitcnt vmcnt(0)
	ds_swizzle_b32 v1, v1 offset:swizzle(SWAP,16)
	s_waitcnt lgkmcnt(1)
	scratch_store_b32 v5, v2, off
	s_clause 0x1
	scratch_load_b32 v2, v7, off
	scratch_load_b32 v5, v6, off
	s_waitcnt vmcnt(1)
	ds_swizzle_b32 v2, v2 offset:swizzle(SWAP,8)
	s_waitcnt vmcnt(0)
	ds_swizzle_b32 v5, v5 offset:swizzle(SWAP,4)
	s_waitcnt lgkmcnt(2)
	scratch_store_b32 v3, v1, off
	scratch_load_b32 v1, v8, off
	v_cndmask_b32_e64 v3, 24, 56, s0
	s_waitcnt lgkmcnt(0)
	scratch_store_b32 v6, v5, off
	v_cndmask_b32_e64 v6, 64, 0x60, s0
	s_waitcnt vmcnt(0)
	ds_swizzle_b32 v1, v1 offset:swizzle(SWAP,16)
	scratch_store_b32 v7, v2, off
	s_clause 0x1
	scratch_load_b32 v2, v3, off
	scratch_load_b32 v5, v4, off
	v_cndmask_b32_e64 v7, 28, 60, s0
	s_waitcnt lgkmcnt(0)
	scratch_store_b32 v8, v1, off
	scratch_load_b32 v1, v6, off
	v_cndmask_b32_e64 v8, 8, 24, vcc_lo
	s_waitcnt vmcnt(2)
	ds_swizzle_b32 v2, v2 offset:swizzle(SWAP,8)
	s_waitcnt vmcnt(1)
	ds_swizzle_b32 v5, v5 offset:swizzle(SWAP,4)
	;; [unrolled: 2-line block ×3, first 2 shown]
	s_waitcnt lgkmcnt(2)
	scratch_store_b32 v3, v2, off
	s_waitcnt lgkmcnt(1)
	scratch_store_b32 v4, v5, off
	s_clause 0x1
	scratch_load_b32 v2, v7, off
	scratch_load_b32 v3, v8, off
	v_mov_b32_e32 v4, 0x64
	s_delay_alu instid0(VALU_DEP_1)
	v_cndmask_b32_e64 v5, 0x44, v4, s0
	s_waitcnt vmcnt(1)
	ds_swizzle_b32 v2, v2 offset:swizzle(SWAP,8)
	s_waitcnt lgkmcnt(1)
	scratch_store_b32 v6, v1, off
	scratch_load_b32 v1, v5, off
	s_waitcnt vmcnt(1)
	ds_swizzle_b32 v3, v3 offset:swizzle(SWAP,4)
	v_cndmask_b32_e64 v6, 12, 28, vcc_lo
	s_waitcnt lgkmcnt(1)
	scratch_store_b32 v7, v2, off
	v_and_b32_e32 v2, 2, v65
	s_waitcnt lgkmcnt(0)
	scratch_store_b32 v8, v3, off
	scratch_load_b32 v3, v6, off
	v_lshlrev_b32_e32 v7, 2, v2
	v_cmp_eq_u32_e64 s1, 0, v2
	s_delay_alu instid0(VALU_DEP_2) | instskip(NEXT) | instid1(VALU_DEP_2)
	v_xor_b32_e32 v7, 8, v7
	v_cndmask_b32_e64 v2, 4, 12, s1
	v_cndmask_b32_e64 v21, 36, 44, s1
	;; [unrolled: 1-line block ×4, first 2 shown]
	v_or_b32_e32 v7, 0, v7
	v_or_b32_e32 v2, 0, v2
	v_cndmask_b32_e64 v9, 0x60, v9, s1
	scratch_load_b32 v8, v7, off
	s_waitcnt vmcnt(2)
	ds_swizzle_b32 v1, v1 offset:swizzle(SWAP,8)
	s_waitcnt lgkmcnt(0)
	scratch_store_b32 v5, v1, off
	scratch_load_b32 v1, v10, off
	v_cndmask_b32_e64 v5, 32, 48, vcc_lo
	s_waitcnt vmcnt(2)
	ds_swizzle_b32 v3, v3 offset:swizzle(SWAP,4)
	scratch_load_b32 v11, v5, off
	s_waitcnt vmcnt(2)
	ds_swizzle_b32 v8, v8 offset:swizzle(SWAP,2)
	s_waitcnt lgkmcnt(1)
	scratch_store_b32 v6, v3, off
	s_waitcnt lgkmcnt(0)
	scratch_store_b32 v7, v8, off
	v_mov_b32_e32 v6, 0x6c
	scratch_load_b32 v3, v2, off
	v_cndmask_b32_e64 v7, 0x4c, v6, s0
	s_waitcnt vmcnt(2)
	ds_swizzle_b32 v1, v1 offset:swizzle(SWAP,8)
	s_waitcnt vmcnt(1)
	ds_swizzle_b32 v8, v11 offset:swizzle(SWAP,4)
	v_and_b32_e32 v11, 1, v65
	s_delay_alu instid0(VALU_DEP_1) | instskip(SKIP_1) | instid1(VALU_DEP_2)
	v_cmp_eq_u32_e64 s2, 0, v11
	v_lshlrev_b32_e32 v13, 2, v11
	v_cndmask_b32_e64 v11, 8, 12, s2
	s_delay_alu instid0(VALU_DEP_2)
	v_xor_b32_e32 v13, 4, v13
	v_cndmask_b32_e64 v18, 16, 20, s2
	s_waitcnt lgkmcnt(1)
	scratch_store_b32 v10, v1, off
	scratch_load_b32 v1, v7, off
	v_cndmask_b32_e64 v10, 36, 52, vcc_lo
	v_or_b32_e32 v11, 0, v11
	v_or_b32_e32 v13, 0, v13
	v_cndmask_b32_e64 v25, 32, 36, s2
	s_waitcnt lgkmcnt(0)
	scratch_store_b32 v5, v8, off
	v_cndmask_b32_e64 v8, 16, 24, s1
	scratch_load_b32 v5, v10, off
	v_cndmask_b32_e64 v30, 48, 52, s2
	v_cndmask_b32_e64 v4, 0x60, v4, s2
	;; [unrolled: 1-line block ×3, first 2 shown]
	scratch_load_b32 v12, v8, off
	s_waitcnt vmcnt(3)
	ds_swizzle_b32 v3, v3 offset:swizzle(SWAP,2)
	s_waitcnt vmcnt(2)
	ds_swizzle_b32 v1, v1 offset:swizzle(SWAP,8)
	s_waitcnt lgkmcnt(1)
	scratch_store_b32 v2, v3, off
	v_mov_b32_e32 v3, 0x70
	scratch_load_b32 v2, v13, off
	v_cndmask_b32_e64 v14, 0x50, v3, s0
	s_waitcnt vmcnt(2)
	ds_swizzle_b32 v5, v5 offset:swizzle(SWAP,4)
	v_cndmask_b32_e32 v3, 0x60, v3, vcc_lo
	s_waitcnt vmcnt(1)
	ds_swizzle_b32 v12, v12 offset:swizzle(SWAP,2)
	s_waitcnt lgkmcnt(2)
	scratch_store_b32 v7, v1, off
	scratch_load_b32 v1, v14, off
	v_cndmask_b32_e64 v7, 40, 56, vcc_lo
	s_waitcnt lgkmcnt(1)
	scratch_store_b32 v10, v5, off
	scratch_load_b32 v5, v7, off
	v_cndmask_b32_e64 v10, 20, 28, s1
	s_waitcnt lgkmcnt(0)
	scratch_store_b32 v8, v12, off
	scratch_load_b32 v12, v11, off
	s_waitcnt vmcnt(2)
	ds_swizzle_b32 v1, v1 offset:swizzle(SWAP,8)
	s_waitcnt lgkmcnt(0)
	scratch_store_b32 v14, v1, off
	s_clause 0x1
	scratch_load_b32 v1, v16, off
	scratch_load_b32 v8, v10, off
	s_waitcnt vmcnt(3)
	ds_swizzle_b32 v5, v5 offset:swizzle(SWAP,4)
	v_cndmask_b32_e64 v14, 44, 60, vcc_lo
	ds_swizzle_b32 v2, v2 offset:swizzle(SWAP,1)
	s_waitcnt vmcnt(1)
	ds_swizzle_b32 v1, v1 offset:swizzle(SWAP,8)
	s_waitcnt vmcnt(0)
	ds_swizzle_b32 v8, v8 offset:swizzle(SWAP,2)
	s_waitcnt lgkmcnt(3)
	scratch_store_b32 v7, v5, off
	v_cndmask_b32_e64 v7, 32, 40, s1
	s_clause 0x1
	scratch_load_b32 v5, v14, off
	scratch_load_b32 v17, v7, off
	ds_swizzle_b32 v12, v12 offset:swizzle(SWAP,1)
	s_waitcnt lgkmcnt(2)
	scratch_store_b32 v16, v1, off
	s_waitcnt lgkmcnt(1)
	scratch_store_b32 v10, v8, off
	v_mov_b32_e32 v10, 0x78
	scratch_load_b32 v8, v18, off
	v_cndmask_b32_e64 v16, 64, 0x50, vcc_lo
	v_cndmask_b32_e64 v19, 0x58, v10, s0
	s_clause 0x1
	scratch_load_b32 v1, v19, off
	scratch_load_b32 v20, v16, off
	s_waitcnt vmcnt(4)
	ds_swizzle_b32 v5, v5 offset:swizzle(SWAP,4)
	s_waitcnt vmcnt(3)
	ds_swizzle_b32 v17, v17 offset:swizzle(SWAP,2)
	s_waitcnt lgkmcnt(1)
	scratch_store_b32 v14, v5, off
	s_waitcnt lgkmcnt(0)
	scratch_store_b32 v7, v17, off
	scratch_load_b32 v5, v21, off
	v_mov_b32_e32 v17, 0x7c
	v_cndmask_b32_e64 v7, 24, 28, s2
	s_waitcnt vmcnt(3)
	ds_swizzle_b32 v8, v8 offset:swizzle(SWAP,1)
	s_waitcnt vmcnt(2)
	ds_swizzle_b32 v1, v1 offset:swizzle(SWAP,8)
	;; [unrolled: 2-line block ×3, first 2 shown]
	v_cndmask_b32_e64 v22, 0x5c, v17, s0
	s_waitcnt lgkmcnt(1)
	scratch_store_b32 v19, v1, off
	s_waitcnt lgkmcnt(0)
	scratch_store_b32 v16, v20, off
	v_mov_b32_e32 v19, 0x54
	scratch_load_b32 v1, v22, off
	v_cndmask_b32_e64 v16, 48, 56, s1
	scratch_load_b32 v14, v7, off
	v_cndmask_b32_e32 v23, 0x44, v19, vcc_lo
	s_clause 0x1
	scratch_load_b32 v20, v23, off
	scratch_load_b32 v24, v16, off
	s_waitcnt vmcnt(4)
	ds_swizzle_b32 v5, v5 offset:swizzle(SWAP,2)
	s_waitcnt vmcnt(3)
	ds_swizzle_b32 v1, v1 offset:swizzle(SWAP,8)
	s_waitcnt vmcnt(2)
	ds_swizzle_b32 v14, v14 offset:swizzle(SWAP,1)
	s_waitcnt vmcnt(1)
	ds_swizzle_b32 v20, v20 offset:swizzle(SWAP,4)
	s_waitcnt lgkmcnt(3)
	scratch_store_b32 v21, v5, off
	s_waitcnt vmcnt(0)
	ds_swizzle_b32 v21, v24 offset:swizzle(SWAP,2)
	scratch_load_b32 v5, v25, off
	s_waitcnt lgkmcnt(3)
	scratch_store_b32 v22, v1, off
	v_mov_b32_e32 v22, 0x58
	scratch_load_b32 v1, v3, off
	v_cndmask_b32_e32 v24, 0x48, v22, vcc_lo
	s_waitcnt lgkmcnt(1)
	scratch_store_b32 v23, v20, off
	s_waitcnt lgkmcnt(0)
	scratch_store_b32 v16, v21, off
	s_clause 0x1
	scratch_load_b32 v16, v26, off
	scratch_load_b32 v20, v24, off
	v_cndmask_b32_e64 v21, 40, 44, s2
	scratch_load_b32 v23, v21, off
	s_waitcnt vmcnt(4)
	ds_swizzle_b32 v5, v5 offset:swizzle(SWAP,1)
	s_waitcnt vmcnt(3)
	ds_swizzle_b32 v1, v1 offset:swizzle(SWAP,4)
	s_waitcnt vmcnt(2)
	ds_swizzle_b32 v16, v16 offset:swizzle(SWAP,2)
	s_waitcnt vmcnt(1)
	ds_swizzle_b32 v20, v20 offset:swizzle(SWAP,4)
	s_waitcnt vmcnt(0)
	ds_swizzle_b32 v23, v23 offset:swizzle(SWAP,1)
	s_waitcnt lgkmcnt(3)
	scratch_store_b32 v3, v1, off
	v_mov_b32_e32 v3, 0x5c
	scratch_load_b32 v1, v27, off
	v_cndmask_b32_e32 v28, 0x4c, v3, vcc_lo
	s_waitcnt lgkmcnt(1)
	scratch_store_b32 v24, v20, off
	s_clause 0x1
	scratch_load_b32 v20, v28, off
	scratch_load_b32 v24, v29, off
	s_waitcnt vmcnt(2)
	ds_swizzle_b32 v1, v1 offset:swizzle(SWAP,4)
	scratch_store_b32 v26, v16, off
	v_cndmask_b32_e32 v26, 0x68, v10, vcc_lo
	scratch_load_b32 v16, v30, off
	v_cndmask_b32_e64 v10, 0x70, v10, s1
	s_waitcnt vmcnt(2)
	ds_swizzle_b32 v20, v20 offset:swizzle(SWAP,4)
	s_waitcnt vmcnt(1)
	ds_swizzle_b32 v24, v24 offset:swizzle(SWAP,2)
	s_waitcnt lgkmcnt(2)
	scratch_store_b32 v27, v1, off
	v_mov_b32_e32 v27, 0x4c
	s_delay_alu instid0(VALU_DEP_1)
	v_cndmask_b32_e64 v31, 0x44, v27, s1
	v_cndmask_b32_e64 v27, 0x48, v27, s2
	s_waitcnt lgkmcnt(1)
	scratch_store_b32 v28, v20, off
	s_waitcnt lgkmcnt(0)
	scratch_store_b32 v29, v24, off
	v_cndmask_b32_e64 v24, 56, 60, s2
	s_clause 0x2
	scratch_load_b32 v20, v31, off
	scratch_load_b32 v1, v26, off
	scratch_load_b32 v28, v24, off
	s_clause 0x1
	scratch_store_b32 v13, v2, off
	scratch_store_b32 v11, v12, off
	v_cndmask_b32_e32 v2, 0x6c, v17, vcc_lo
	v_cndmask_b32_e64 v12, 0x50, v22, s1
	v_cndmask_b32_e64 v22, 64, 0x44, s2
	scratch_load_b128 v[33:36], off, off
	scratch_load_b32 v13, v12, off
	s_waitcnt vmcnt(5)
	ds_swizzle_b32 v16, v16 offset:swizzle(SWAP,1)
	s_waitcnt vmcnt(4)
	ds_swizzle_b32 v11, v20 offset:swizzle(SWAP,2)
	;; [unrolled: 2-line block ×3, first 2 shown]
	s_waitcnt lgkmcnt(0)
	scratch_store_b32 v26, v1, off
	s_clause 0x1
	scratch_load_b32 v20, v9, off
	scratch_load_b32 v1, v2, off
	s_waitcnt vmcnt(2)
	ds_swizzle_b32 v13, v13 offset:swizzle(SWAP,2)
	ds_swizzle_b32 v26, v28 offset:swizzle(SWAP,1)
	v_cndmask_b32_e64 v28, 0x64, v6, s1
	v_cndmask_b32_e64 v6, 0x68, v6, s2
	s_waitcnt lgkmcnt(1)
	scratch_store_b32 v12, v13, off
	s_waitcnt vmcnt(1)
	ds_swizzle_b32 v20, v20 offset:swizzle(SWAP,2)
	s_waitcnt vmcnt(0)
	ds_swizzle_b32 v1, v1 offset:swizzle(SWAP,4)
	s_waitcnt lgkmcnt(0)
	s_clause 0x1
	scratch_store_b32 v2, v1, off
	scratch_store_b32 v31, v11, off
	s_clause 0x1
	scratch_load_b32 v11, v22, off
	scratch_load_b32 v1, v10, off
	v_cndmask_b32_e64 v2, 0x54, v3, s1
	s_clause 0x1
	scratch_load_b32 v12, v2, off
	scratch_load_b32 v13, v27, off
	v_cndmask_b32_e64 v3, 0x58, v3, s2
	s_waitcnt vmcnt(3)
	ds_swizzle_b32 v11, v11 offset:swizzle(SWAP,1)
	s_waitcnt vmcnt(2)
	ds_swizzle_b32 v1, v1 offset:swizzle(SWAP,2)
	;; [unrolled: 2-line block ×3, first 2 shown]
	scratch_store_b32 v9, v20, off
	v_cndmask_b32_e64 v20, 0x74, v17, s1
	scratch_load_b32 v9, v28, off
	v_cndmask_b32_e64 v17, 0x78, v17, s2
	s_waitcnt vmcnt(1)
	ds_swizzle_b32 v13, v13 offset:swizzle(SWAP,1)
	s_waitcnt lgkmcnt(2)
	scratch_store_b32 v10, v1, off
	scratch_load_b32 v1, v20, off
	v_cndmask_b32_e64 v10, 0x50, v19, s2
	s_waitcnt lgkmcnt(1)
	scratch_store_b32 v2, v12, off
	scratch_load_b32 v2, v10, off
	s_waitcnt vmcnt(2)
	ds_swizzle_b32 v9, v9 offset:swizzle(SWAP,2)
	s_waitcnt vmcnt(1)
	ds_swizzle_b32 v1, v1 offset:swizzle(SWAP,2)
	s_waitcnt vmcnt(0)
	ds_swizzle_b32 v2, v2 offset:swizzle(SWAP,1)
	s_waitcnt lgkmcnt(2)
	scratch_store_b32 v28, v9, off
	s_clause 0x2
	scratch_load_b32 v9, v3, off
	scratch_load_b32 v12, v4, off
	;; [unrolled: 1-line block ×3, first 2 shown]
	s_waitcnt lgkmcnt(1)
	scratch_store_b32 v20, v1, off
	s_clause 0x1
	scratch_load_b32 v1, v15, off
	scratch_load_b32 v20, v17, off
	s_clause 0x1
	scratch_store_b32 v18, v8, off
	scratch_store_b32 v7, v14, off
	scratch_load_b128 v[37:40], off, off offset:16
	s_waitcnt vmcnt(5)
	ds_swizzle_b32 v9, v9 offset:swizzle(SWAP,1)
	s_waitcnt vmcnt(4)
	ds_swizzle_b32 v12, v12 offset:swizzle(SWAP,1)
	;; [unrolled: 2-line block ×3, first 2 shown]
	s_clause 0x2
	scratch_store_b32 v24, v26, off
	scratch_store_b32 v22, v11, off
	;; [unrolled: 1-line block ×3, first 2 shown]
	s_waitcnt lgkmcnt(3)
	scratch_store_b32 v10, v2, off
	s_waitcnt lgkmcnt(2)
	scratch_store_b32 v3, v9, off
	s_waitcnt lgkmcnt(1)
	s_clause 0x1
	scratch_store_b32 v4, v12, off
	scratch_store_b32 v25, v5, off
	s_waitcnt lgkmcnt(0)
	scratch_store_b32 v6, v19, off
	s_waitcnt vmcnt(2)
	ds_swizzle_b32 v1, v1 offset:swizzle(SWAP,1)
	s_waitcnt vmcnt(1)
	ds_swizzle_b32 v7, v20 offset:swizzle(SWAP,1)
	s_clause 0x1
	scratch_load_b128 v[41:44], off, off offset:64
	scratch_load_b128 v[45:48], off, off offset:80
	s_clause 0x1
	scratch_store_b32 v21, v23, off
	scratch_store_b32 v30, v16, off
	s_clause 0x1
	scratch_load_b128 v[61:64], off, off offset:32
	scratch_load_b128 v[57:60], off, off offset:48
	s_waitcnt lgkmcnt(1)
	scratch_store_b32 v15, v1, off
	s_waitcnt lgkmcnt(0)
	scratch_store_b32 v17, v7, off
	s_clause 0x1
	scratch_load_b128 v[53:56], off, off offset:96
	scratch_load_b128 v[49:52], off, off offset:112
.LBB8_4:
	v_lshlrev_b32_e32 v0, 2, v0
	global_store_b128 v0, v[33:36], s[6:7]
	s_waitcnt vmcnt(6)
	global_store_b128 v0, v[37:40], s[6:7] offset:16
	s_waitcnt vmcnt(3)
	global_store_b128 v0, v[61:64], s[6:7] offset:32
	s_waitcnt vmcnt(2)
	s_clause 0x2
	global_store_b128 v0, v[57:60], s[6:7] offset:48
	global_store_b128 v0, v[41:44], s[6:7] offset:64
	;; [unrolled: 1-line block ×3, first 2 shown]
	s_waitcnt vmcnt(1)
	global_store_b128 v0, v[53:56], s[6:7] offset:96
	s_waitcnt vmcnt(0)
	global_store_b128 v0, v[49:52], s[6:7] offset:112
	s_endpgm
	.section	.rodata,"a",@progbits
	.p2align	6, 0x0
	.amdhsa_kernel _Z20warp_exchange_kernelILj32ELj32EN6common25StripedToBlockedShuffleOpEfEvPT2_S3_b
		.amdhsa_group_segment_fixed_size 0
		.amdhsa_private_segment_fixed_size 144
		.amdhsa_kernarg_size 20
		.amdhsa_user_sgpr_count 15
		.amdhsa_user_sgpr_dispatch_ptr 0
		.amdhsa_user_sgpr_queue_ptr 0
		.amdhsa_user_sgpr_kernarg_segment_ptr 1
		.amdhsa_user_sgpr_dispatch_id 0
		.amdhsa_user_sgpr_private_segment_size 0
		.amdhsa_wavefront_size32 1
		.amdhsa_uses_dynamic_stack 0
		.amdhsa_enable_private_segment 1
		.amdhsa_system_sgpr_workgroup_id_x 1
		.amdhsa_system_sgpr_workgroup_id_y 0
		.amdhsa_system_sgpr_workgroup_id_z 0
		.amdhsa_system_sgpr_workgroup_info 0
		.amdhsa_system_vgpr_workitem_id 0
		.amdhsa_next_free_vgpr 69
		.amdhsa_next_free_sgpr 8
		.amdhsa_reserve_vcc 1
		.amdhsa_float_round_mode_32 0
		.amdhsa_float_round_mode_16_64 0
		.amdhsa_float_denorm_mode_32 3
		.amdhsa_float_denorm_mode_16_64 3
		.amdhsa_dx10_clamp 1
		.amdhsa_ieee_mode 1
		.amdhsa_fp16_overflow 0
		.amdhsa_workgroup_processor_mode 1
		.amdhsa_memory_ordered 1
		.amdhsa_forward_progress 0
		.amdhsa_shared_vgpr_count 0
		.amdhsa_exception_fp_ieee_invalid_op 0
		.amdhsa_exception_fp_denorm_src 0
		.amdhsa_exception_fp_ieee_div_zero 0
		.amdhsa_exception_fp_ieee_overflow 0
		.amdhsa_exception_fp_ieee_underflow 0
		.amdhsa_exception_fp_ieee_inexact 0
		.amdhsa_exception_int_div_zero 0
	.end_amdhsa_kernel
	.section	.text._Z20warp_exchange_kernelILj32ELj32EN6common25StripedToBlockedShuffleOpEfEvPT2_S3_b,"axG",@progbits,_Z20warp_exchange_kernelILj32ELj32EN6common25StripedToBlockedShuffleOpEfEvPT2_S3_b,comdat
.Lfunc_end8:
	.size	_Z20warp_exchange_kernelILj32ELj32EN6common25StripedToBlockedShuffleOpEfEvPT2_S3_b, .Lfunc_end8-_Z20warp_exchange_kernelILj32ELj32EN6common25StripedToBlockedShuffleOpEfEvPT2_S3_b
                                        ; -- End function
	.section	.AMDGPU.csdata,"",@progbits
; Kernel info:
; codeLenInByte = 7684
; NumSgprs: 10
; NumVgprs: 69
; ScratchSize: 144
; MemoryBound: 1
; FloatMode: 240
; IeeeMode: 1
; LDSByteSize: 0 bytes/workgroup (compile time only)
; SGPRBlocks: 1
; VGPRBlocks: 8
; NumSGPRsForWavesPerEU: 10
; NumVGPRsForWavesPerEU: 69
; Occupancy: 16
; WaveLimiterHint : 0
; COMPUTE_PGM_RSRC2:SCRATCH_EN: 1
; COMPUTE_PGM_RSRC2:USER_SGPR: 15
; COMPUTE_PGM_RSRC2:TRAP_HANDLER: 0
; COMPUTE_PGM_RSRC2:TGID_X_EN: 1
; COMPUTE_PGM_RSRC2:TGID_Y_EN: 0
; COMPUTE_PGM_RSRC2:TGID_Z_EN: 0
; COMPUTE_PGM_RSRC2:TIDIG_COMP_CNT: 0
	.section	.text._Z20warp_exchange_kernelILj8ELj8EN6common25StripedToBlockedShuffleOpElEvPT2_S3_b,"axG",@progbits,_Z20warp_exchange_kernelILj8ELj8EN6common25StripedToBlockedShuffleOpElEvPT2_S3_b,comdat
	.protected	_Z20warp_exchange_kernelILj8ELj8EN6common25StripedToBlockedShuffleOpElEvPT2_S3_b ; -- Begin function _Z20warp_exchange_kernelILj8ELj8EN6common25StripedToBlockedShuffleOpElEvPT2_S3_b
	.globl	_Z20warp_exchange_kernelILj8ELj8EN6common25StripedToBlockedShuffleOpElEvPT2_S3_b
	.p2align	8
	.type	_Z20warp_exchange_kernelILj8ELj8EN6common25StripedToBlockedShuffleOpElEvPT2_S3_b,@function
_Z20warp_exchange_kernelILj8ELj8EN6common25StripedToBlockedShuffleOpElEvPT2_S3_b: ; @_Z20warp_exchange_kernelILj8ELj8EN6common25StripedToBlockedShuffleOpElEvPT2_S3_b
; %bb.0:
	s_load_b128 s[4:7], s[2:3], 0x0
	v_and_b32_e32 v17, 0x3ff, v0
	s_load_b32 s2, s[2:3], 0x10
	v_mbcnt_lo_u32_b32 v18, -1, 0
	s_delay_alu instid0(VALU_DEP_2) | instskip(SKIP_1) | instid1(VALU_DEP_3)
	v_lshlrev_b32_e32 v13, 6, v17
	v_lshlrev_b32_e32 v33, 3, v17
	v_and_b32_e32 v19, 4, v18
	v_and_b32_e32 v36, 2, v18
	;; [unrolled: 1-line block ×3, first 2 shown]
	s_waitcnt lgkmcnt(0)
	s_clause 0x3
	global_load_b128 v[1:4], v13, s[4:5] offset:48
	global_load_b128 v[5:8], v13, s[4:5] offset:32
	;; [unrolled: 1-line block ×3, first 2 shown]
	global_load_b128 v[13:16], v13, s[4:5]
	v_lshlrev_b32_e32 v20, 3, v19
	v_cmp_eq_u32_e32 vcc_lo, 0, v19
	s_bitcmp0_b32 s2, 0
	s_mov_b32 s2, -1
	s_delay_alu instid0(VALU_DEP_2)
	v_xor_b32_e32 v39, 32, v20
	v_cndmask_b32_e64 v38, 8, 40, vcc_lo
	v_cndmask_b32_e64 v37, 16, 48, vcc_lo
	;; [unrolled: 1-line block ×3, first 2 shown]
	s_cbranch_scc0 .LBB9_2
; %bb.1:
	s_load_b64 s[0:1], s[0:1], 0x4
	v_bfe_u32 v18, v0, 10, 10
	v_bfe_u32 v0, v0, 20, 10
	v_cmp_eq_u32_e32 vcc_lo, 0, v36
	v_cndmask_b32_e64 v24, 32, 48, vcc_lo
	v_cndmask_b32_e64 v23, 8, 24, vcc_lo
	s_waitcnt lgkmcnt(0)
	s_lshr_b32 s0, s0, 16
	s_delay_alu instid0(SALU_CYCLE_1) | instskip(NEXT) | instid1(SALU_CYCLE_1)
	s_mul_i32 s0, s0, s1
	v_mul_lo_u32 v17, s0, v17
	s_delay_alu instid0(VALU_DEP_1) | instskip(NEXT) | instid1(VALU_DEP_1)
	v_mad_u32_u24 v17, v18, s1, v17
	v_add_lshl_u32 v0, v17, v0, 6
	s_waitcnt vmcnt(0)
	ds_store_b128 v0, v[13:16]
	ds_store_b128 v0, v[9:12] offset:16
	ds_store_b128 v0, v[5:8] offset:32
	v_or_b32_e32 v19, v0, v39
	v_or_b32_e32 v20, v0, v38
	;; [unrolled: 1-line block ×4, first 2 shown]
	ds_load_b64 v[17:18], v19
	s_waitcnt lgkmcnt(0)
	ds_swizzle_b32 v17, v17 offset:swizzle(SWAP,4)
	ds_swizzle_b32 v18, v18 offset:swizzle(SWAP,4)
	s_waitcnt lgkmcnt(0)
	ds_store_b64 v19, v[17:18]
	ds_load_b64 v[17:18], v20
	v_or_b32_e32 v19, v0, v37
	s_waitcnt lgkmcnt(0)
	ds_swizzle_b32 v17, v17 offset:swizzle(SWAP,4)
	ds_swizzle_b32 v18, v18 offset:swizzle(SWAP,4)
	ds_store_b128 v0, v[1:4] offset:48
	s_waitcnt lgkmcnt(1)
	ds_store_b64 v20, v[17:18]
	ds_load_b64 v[17:18], v19
	s_waitcnt lgkmcnt(0)
	ds_swizzle_b32 v17, v17 offset:swizzle(SWAP,4)
	ds_swizzle_b32 v18, v18 offset:swizzle(SWAP,4)
	s_waitcnt lgkmcnt(0)
	ds_store_b64 v19, v[17:18]
	ds_load_b64 v[17:18], v21
	v_lshlrev_b32_e32 v19, 3, v36
	s_delay_alu instid0(VALU_DEP_1) | instskip(NEXT) | instid1(VALU_DEP_1)
	v_xor_b32_e32 v19, 16, v19
	v_or_b32_e32 v22, v0, v19
	ds_load_b64 v[19:20], v22
	s_waitcnt lgkmcnt(1)
	ds_swizzle_b32 v17, v17 offset:swizzle(SWAP,4)
	ds_swizzle_b32 v18, v18 offset:swizzle(SWAP,4)
	s_waitcnt lgkmcnt(2)
	ds_swizzle_b32 v19, v19 offset:swizzle(SWAP,2)
	ds_swizzle_b32 v20, v20 offset:swizzle(SWAP,2)
	s_waitcnt lgkmcnt(2)
	ds_store_b64 v21, v[17:18]
	ds_load_b64 v[17:18], v24
	v_or_b32_e32 v21, v0, v23
	s_waitcnt lgkmcnt(0)
	ds_swizzle_b32 v17, v17 offset:swizzle(SWAP,2)
	ds_swizzle_b32 v18, v18 offset:swizzle(SWAP,2)
	ds_store_b64 v22, v[19:20]
	v_cndmask_b32_e64 v22, 40, 56, vcc_lo
	ds_load_b64 v[19:20], v21
	v_cmp_eq_u32_e32 vcc_lo, 0, v34
	v_or_b32_e32 v23, v0, v22
	v_lshlrev_b32_e32 v22, 3, v34
	v_cndmask_b32_e64 v25, 48, 56, vcc_lo
	s_delay_alu instid0(VALU_DEP_2) | instskip(NEXT) | instid1(VALU_DEP_2)
	v_xor_b32_e32 v22, 8, v22
	v_or_b32_e32 v32, v0, v25
	s_delay_alu instid0(VALU_DEP_2)
	v_or_b32_e32 v29, v0, v22
	s_waitcnt lgkmcnt(2)
	ds_store_b64 v24, v[17:18]
	ds_load_b64 v[17:18], v23
	v_cndmask_b32_e64 v24, 16, 24, vcc_lo
	s_waitcnt lgkmcnt(2)
	ds_swizzle_b32 v19, v19 offset:swizzle(SWAP,2)
	ds_swizzle_b32 v20, v20 offset:swizzle(SWAP,2)
	v_or_b32_e32 v30, v0, v24
	v_cndmask_b32_e64 v24, 32, 40, vcc_lo
	s_delay_alu instid0(VALU_DEP_1)
	v_or_b32_e32 v31, v0, v24
	s_waitcnt lgkmcnt(2)
	ds_swizzle_b32 v17, v17 offset:swizzle(SWAP,2)
	ds_swizzle_b32 v18, v18 offset:swizzle(SWAP,2)
	s_waitcnt lgkmcnt(2)
	ds_store_b64 v21, v[19:20]
	ds_load_b64 v[19:20], v29
	ds_load_b64 v[21:22], v30
	s_waitcnt lgkmcnt(3)
	ds_store_b64 v23, v[17:18]
	ds_load_b64 v[17:18], v31
	ds_load_b64 v[23:24], v32
	s_waitcnt lgkmcnt(4)
	ds_swizzle_b32 v19, v19 offset:swizzle(SWAP,1)
	ds_swizzle_b32 v20, v20 offset:swizzle(SWAP,1)
	s_waitcnt lgkmcnt(5)
	ds_swizzle_b32 v21, v21 offset:swizzle(SWAP,1)
	ds_swizzle_b32 v22, v22 offset:swizzle(SWAP,1)
	s_waitcnt lgkmcnt(2)
	ds_store_b64 v29, v[19:20]
	s_waitcnt lgkmcnt(1)
	ds_store_b64 v30, v[21:22]
	ds_swizzle_b32 v25, v17 offset:swizzle(SWAP,1)
	ds_swizzle_b32 v26, v18 offset:swizzle(SWAP,1)
	;; [unrolled: 1-line block ×4, first 2 shown]
	ds_load_b128 v[17:20], v0
	ds_load_b128 v[21:24], v0 offset:16
	s_waitcnt lgkmcnt(4)
	ds_store_b64 v31, v[25:26]
	s_waitcnt lgkmcnt(3)
	ds_store_b64 v32, v[27:28]
	ds_load_b128 v[25:28], v0 offset:32
	ds_load_b128 v[29:32], v0 offset:48
	s_cbranch_execz .LBB9_3
	s_branch .LBB9_4
.LBB9_2:
                                        ; implicit-def: $vgpr31_vgpr32
                                        ; implicit-def: $vgpr27_vgpr28
                                        ; implicit-def: $vgpr23_vgpr24
                                        ; implicit-def: $vgpr19_vgpr20
	s_and_not1_b32 vcc_lo, exec_lo, s2
	s_cbranch_vccnz .LBB9_4
.LBB9_3:
	s_waitcnt vmcnt(0)
	s_clause 0x2
	scratch_store_b128 off, v[13:16], off
	scratch_store_b128 off, v[9:12], off offset:16
	scratch_store_b128 off, v[5:8], off offset:32
	scratch_load_b64 v[5:6], v39, off
	v_cmp_eq_u32_e32 vcc_lo, 0, v36
	v_cndmask_b32_e64 v7, 40, 56, vcc_lo
	s_waitcnt vmcnt(0)
	ds_swizzle_b32 v5, v5 offset:swizzle(SWAP,4)
	ds_swizzle_b32 v6, v6 offset:swizzle(SWAP,4)
	s_waitcnt lgkmcnt(0)
	scratch_store_b64 v39, v[5:6], off
	scratch_load_b64 v[5:6], v38, off
	s_waitcnt vmcnt(0)
	ds_swizzle_b32 v5, v5 offset:swizzle(SWAP,4)
	ds_swizzle_b32 v6, v6 offset:swizzle(SWAP,4)
	scratch_store_b128 off, v[1:4], off offset:48
	s_waitcnt lgkmcnt(0)
	scratch_store_b64 v38, v[5:6], off
	scratch_load_b64 v[0:1], v37, off
	v_lshlrev_b32_e32 v2, 3, v36
	v_cndmask_b32_e64 v6, 32, 48, vcc_lo
	v_cndmask_b32_e64 v5, 8, 24, vcc_lo
	v_cmp_eq_u32_e32 vcc_lo, 0, v34
	s_delay_alu instid0(VALU_DEP_4)
	v_xor_b32_e32 v4, 16, v2
	v_cndmask_b32_e64 v9, 16, 24, vcc_lo
	v_cndmask_b32_e64 v10, 32, 40, vcc_lo
	;; [unrolled: 1-line block ×3, first 2 shown]
	s_waitcnt vmcnt(0)
	ds_swizzle_b32 v0, v0 offset:swizzle(SWAP,4)
	ds_swizzle_b32 v1, v1 offset:swizzle(SWAP,4)
	s_waitcnt lgkmcnt(0)
	scratch_store_b64 v37, v[0:1], off
	s_clause 0x1
	scratch_load_b64 v[0:1], v35, off
	scratch_load_b64 v[2:3], v4, off
	s_waitcnt vmcnt(1)
	ds_swizzle_b32 v0, v0 offset:swizzle(SWAP,4)
	ds_swizzle_b32 v1, v1 offset:swizzle(SWAP,4)
	s_waitcnt lgkmcnt(0)
	scratch_store_b64 v35, v[0:1], off
	scratch_load_b64 v[0:1], v6, off
	s_waitcnt vmcnt(1)
	ds_swizzle_b32 v2, v2 offset:swizzle(SWAP,2)
	ds_swizzle_b32 v3, v3 offset:swizzle(SWAP,2)
	s_waitcnt vmcnt(0)
	ds_swizzle_b32 v0, v0 offset:swizzle(SWAP,2)
	ds_swizzle_b32 v1, v1 offset:swizzle(SWAP,2)
	s_waitcnt lgkmcnt(2)
	scratch_store_b64 v4, v[2:3], off
	scratch_load_b64 v[2:3], v5, off
	v_lshlrev_b32_e32 v4, 3, v34
	s_delay_alu instid0(VALU_DEP_1) | instskip(NEXT) | instid1(VALU_DEP_1)
	v_xor_b32_e32 v4, 8, v4
	v_or_b32_e32 v8, 0, v4
	s_waitcnt lgkmcnt(0)
	scratch_store_b64 v6, v[0:1], off
	scratch_load_b64 v[0:1], v7, off
	s_waitcnt vmcnt(1)
	ds_swizzle_b32 v2, v2 offset:swizzle(SWAP,2)
	ds_swizzle_b32 v3, v3 offset:swizzle(SWAP,2)
	s_waitcnt vmcnt(0)
	ds_swizzle_b32 v0, v0 offset:swizzle(SWAP,2)
	ds_swizzle_b32 v1, v1 offset:swizzle(SWAP,2)
	s_waitcnt lgkmcnt(2)
	scratch_store_b64 v5, v[2:3], off
	s_clause 0x1
	scratch_load_b64 v[2:3], v8, off
	scratch_load_b64 v[4:5], v9, off
	s_waitcnt lgkmcnt(0)
	scratch_store_b64 v7, v[0:1], off
	s_clause 0x1
	scratch_load_b64 v[0:1], v10, off
	scratch_load_b64 v[6:7], v11, off
	s_waitcnt vmcnt(3)
	ds_swizzle_b32 v2, v2 offset:swizzle(SWAP,1)
	ds_swizzle_b32 v3, v3 offset:swizzle(SWAP,1)
	s_waitcnt vmcnt(2)
	ds_swizzle_b32 v4, v4 offset:swizzle(SWAP,1)
	ds_swizzle_b32 v5, v5 offset:swizzle(SWAP,1)
	s_waitcnt lgkmcnt(2)
	scratch_store_b64 v8, v[2:3], off
	s_waitcnt lgkmcnt(0)
	scratch_store_b64 v9, v[4:5], off
	s_waitcnt vmcnt(1)
	ds_swizzle_b32 v0, v0 offset:swizzle(SWAP,1)
	ds_swizzle_b32 v1, v1 offset:swizzle(SWAP,1)
	s_waitcnt vmcnt(0)
	ds_swizzle_b32 v6, v6 offset:swizzle(SWAP,1)
	ds_swizzle_b32 v7, v7 offset:swizzle(SWAP,1)
	s_clause 0x1
	scratch_load_b128 v[17:20], off, off
	scratch_load_b128 v[21:24], off, off offset:16
	s_waitcnt lgkmcnt(2)
	scratch_store_b64 v10, v[0:1], off
	s_waitcnt lgkmcnt(0)
	scratch_store_b64 v11, v[6:7], off
	s_clause 0x1
	scratch_load_b128 v[25:28], off, off offset:32
	scratch_load_b128 v[29:32], off, off offset:48
.LBB9_4:
	v_lshlrev_b32_e32 v0, 3, v33
	s_waitcnt vmcnt(3) lgkmcnt(5)
	global_store_b128 v0, v[17:20], s[6:7]
	s_waitcnt vmcnt(2) lgkmcnt(4)
	global_store_b128 v0, v[21:24], s[6:7] offset:16
	s_waitcnt vmcnt(1) lgkmcnt(1)
	global_store_b128 v0, v[25:28], s[6:7] offset:32
	s_waitcnt vmcnt(0) lgkmcnt(0)
	global_store_b128 v0, v[29:32], s[6:7] offset:48
	s_endpgm
	.section	.rodata,"a",@progbits
	.p2align	6, 0x0
	.amdhsa_kernel _Z20warp_exchange_kernelILj8ELj8EN6common25StripedToBlockedShuffleOpElEvPT2_S3_b
		.amdhsa_group_segment_fixed_size 65536
		.amdhsa_private_segment_fixed_size 80
		.amdhsa_kernarg_size 20
		.amdhsa_user_sgpr_count 15
		.amdhsa_user_sgpr_dispatch_ptr 1
		.amdhsa_user_sgpr_queue_ptr 0
		.amdhsa_user_sgpr_kernarg_segment_ptr 1
		.amdhsa_user_sgpr_dispatch_id 0
		.amdhsa_user_sgpr_private_segment_size 0
		.amdhsa_wavefront_size32 1
		.amdhsa_uses_dynamic_stack 0
		.amdhsa_enable_private_segment 1
		.amdhsa_system_sgpr_workgroup_id_x 1
		.amdhsa_system_sgpr_workgroup_id_y 0
		.amdhsa_system_sgpr_workgroup_id_z 0
		.amdhsa_system_sgpr_workgroup_info 0
		.amdhsa_system_vgpr_workitem_id 2
		.amdhsa_next_free_vgpr 40
		.amdhsa_next_free_sgpr 8
		.amdhsa_reserve_vcc 1
		.amdhsa_float_round_mode_32 0
		.amdhsa_float_round_mode_16_64 0
		.amdhsa_float_denorm_mode_32 3
		.amdhsa_float_denorm_mode_16_64 3
		.amdhsa_dx10_clamp 1
		.amdhsa_ieee_mode 1
		.amdhsa_fp16_overflow 0
		.amdhsa_workgroup_processor_mode 1
		.amdhsa_memory_ordered 1
		.amdhsa_forward_progress 0
		.amdhsa_shared_vgpr_count 0
		.amdhsa_exception_fp_ieee_invalid_op 0
		.amdhsa_exception_fp_denorm_src 0
		.amdhsa_exception_fp_ieee_div_zero 0
		.amdhsa_exception_fp_ieee_overflow 0
		.amdhsa_exception_fp_ieee_underflow 0
		.amdhsa_exception_fp_ieee_inexact 0
		.amdhsa_exception_int_div_zero 0
	.end_amdhsa_kernel
	.section	.text._Z20warp_exchange_kernelILj8ELj8EN6common25StripedToBlockedShuffleOpElEvPT2_S3_b,"axG",@progbits,_Z20warp_exchange_kernelILj8ELj8EN6common25StripedToBlockedShuffleOpElEvPT2_S3_b,comdat
.Lfunc_end9:
	.size	_Z20warp_exchange_kernelILj8ELj8EN6common25StripedToBlockedShuffleOpElEvPT2_S3_b, .Lfunc_end9-_Z20warp_exchange_kernelILj8ELj8EN6common25StripedToBlockedShuffleOpElEvPT2_S3_b
                                        ; -- End function
	.section	.AMDGPU.csdata,"",@progbits
; Kernel info:
; codeLenInByte = 1616
; NumSgprs: 10
; NumVgprs: 40
; ScratchSize: 80
; MemoryBound: 1
; FloatMode: 240
; IeeeMode: 1
; LDSByteSize: 65536 bytes/workgroup (compile time only)
; SGPRBlocks: 1
; VGPRBlocks: 4
; NumSGPRsForWavesPerEU: 10
; NumVGPRsForWavesPerEU: 40
; Occupancy: 16
; WaveLimiterHint : 0
; COMPUTE_PGM_RSRC2:SCRATCH_EN: 1
; COMPUTE_PGM_RSRC2:USER_SGPR: 15
; COMPUTE_PGM_RSRC2:TRAP_HANDLER: 0
; COMPUTE_PGM_RSRC2:TGID_X_EN: 1
; COMPUTE_PGM_RSRC2:TGID_Y_EN: 0
; COMPUTE_PGM_RSRC2:TGID_Z_EN: 0
; COMPUTE_PGM_RSRC2:TIDIG_COMP_CNT: 2
	.section	.text._Z20warp_exchange_kernelILj32ELj32EN6common25StripedToBlockedShuffleOpEsEvPT2_S3_b,"axG",@progbits,_Z20warp_exchange_kernelILj32ELj32EN6common25StripedToBlockedShuffleOpEsEvPT2_S3_b,comdat
	.protected	_Z20warp_exchange_kernelILj32ELj32EN6common25StripedToBlockedShuffleOpEsEvPT2_S3_b ; -- Begin function _Z20warp_exchange_kernelILj32ELj32EN6common25StripedToBlockedShuffleOpEsEvPT2_S3_b
	.globl	_Z20warp_exchange_kernelILj32ELj32EN6common25StripedToBlockedShuffleOpEsEvPT2_S3_b
	.p2align	8
	.type	_Z20warp_exchange_kernelILj32ELj32EN6common25StripedToBlockedShuffleOpEsEvPT2_S3_b,@function
_Z20warp_exchange_kernelILj32ELj32EN6common25StripedToBlockedShuffleOpEsEvPT2_S3_b: ; @_Z20warp_exchange_kernelILj32ELj32EN6common25StripedToBlockedShuffleOpEsEvPT2_S3_b
; %bb.0:
	s_load_b128 s[4:7], s[2:3], 0x0
	v_and_b32_e32 v17, 0x3ff, v0
	s_load_b32 s2, s[2:3], 0x10
	v_mbcnt_lo_u32_b32 v34, -1, 0
	s_mov_b32 s3, 0
	s_delay_alu instid0(VALU_DEP_2)
	v_lshlrev_b32_e32 v1, 6, v17
	v_lshlrev_b32_e32 v33, 5, v17
	s_waitcnt lgkmcnt(0)
	s_clause 0x3
	global_load_b128 v[13:16], v1, s[4:5]
	global_load_b128 v[9:12], v1, s[4:5] offset:16
	global_load_b128 v[5:8], v1, s[4:5] offset:32
	;; [unrolled: 1-line block ×3, first 2 shown]
	s_bitcmp0_b32 s2, 0
	s_cbranch_scc0 .LBB10_2
; %bb.1:
	s_load_b64 s[0:1], s[0:1], 0x4
	v_and_b32_e32 v18, 16, v34
	v_bfe_u32 v19, v0, 10, 10
	v_bfe_u32 v0, v0, 20, 10
	s_delay_alu instid0(VALU_DEP_3) | instskip(SKIP_2) | instid1(SALU_CYCLE_1)
	v_lshlrev_b32_e32 v20, 1, v18
	s_waitcnt lgkmcnt(0)
	s_lshr_b32 s0, s0, 16
	s_mul_i32 s0, s0, s1
	s_delay_alu instid0(SALU_CYCLE_1) | instskip(SKIP_1) | instid1(VALU_DEP_1)
	v_mul_lo_u32 v17, s0, v17
	v_cmp_eq_u32_e64 s0, 0, v18
	v_cndmask_b32_e64 v18, 2, 34, s0
	v_cndmask_b32_e64 v22, 20, 52, s0
	s_delay_alu instid0(VALU_DEP_4) | instskip(SKIP_3) | instid1(VALU_DEP_4)
	v_mad_u32_u24 v17, v19, s1, v17
	v_xor_b32_e32 v19, 32, v20
	v_and_b32_e32 v20, 8, v34
	v_cndmask_b32_e64 v24, 30, 62, s0
	v_add_lshl_u32 v0, v17, v0, 6
	s_waitcnt vmcnt(3)
	ds_store_b128 v0, v[13:16]
	s_waitcnt vmcnt(2)
	ds_store_b128 v0, v[9:12] offset:16
	s_waitcnt vmcnt(1)
	ds_store_b128 v0, v[5:8] offset:32
	v_or_b32_e32 v17, v0, v19
	v_or_b32_e32 v18, v0, v18
	v_lshlrev_b32_e32 v21, 1, v20
	v_or_b32_e32 v22, v0, v22
	v_cmp_eq_u32_e32 vcc_lo, 0, v20
	ds_load_u16 v19, v17
	v_cndmask_b32_e64 v20, 22, 54, s0
	v_or_b32_e32 v24, v0, v24
	v_cndmask_b32_e64 v23, 10, 26, vcc_lo
	s_delay_alu instid0(VALU_DEP_3) | instskip(NEXT) | instid1(VALU_DEP_2)
	v_or_b32_e32 v20, v0, v20
	v_or_b32_e32 v23, v0, v23
	s_waitcnt lgkmcnt(0)
	ds_swizzle_b32 v19, v19 offset:swizzle(SWAP,16)
	s_waitcnt lgkmcnt(0)
	ds_store_b16 v17, v19
	ds_load_u16 v17, v18
	v_cndmask_b32_e64 v19, 4, 36, s0
	s_delay_alu instid0(VALU_DEP_1)
	v_or_b32_e32 v19, v0, v19
	s_waitcnt lgkmcnt(0)
	ds_swizzle_b32 v17, v17 offset:swizzle(SWAP,16)
	s_waitcnt lgkmcnt(0)
	ds_store_b16 v18, v17
	ds_load_u16 v17, v19
	v_cndmask_b32_e64 v18, 6, 38, s0
	s_delay_alu instid0(VALU_DEP_1)
	;; [unrolled: 8-line block ×7, first 2 shown]
	v_or_b32_e32 v19, v0, v19
	s_waitcnt lgkmcnt(0)
	ds_swizzle_b32 v17, v17 offset:swizzle(SWAP,16)
	s_waitcnt vmcnt(0)
	ds_store_b128 v0, v[1:4] offset:48
	s_waitcnt lgkmcnt(1)
	ds_store_b16 v18, v17
	ds_load_u16 v17, v19
	v_cndmask_b32_e64 v18, 18, 50, s0
	s_delay_alu instid0(VALU_DEP_1)
	v_or_b32_e32 v18, v0, v18
	s_waitcnt lgkmcnt(0)
	ds_swizzle_b32 v17, v17 offset:swizzle(SWAP,16)
	s_waitcnt lgkmcnt(0)
	ds_store_b16 v19, v17
	ds_load_u16 v17, v18
	v_xor_b32_e32 v19, 16, v21
	s_delay_alu instid0(VALU_DEP_1)
	v_or_b32_e32 v19, v0, v19
	ds_load_u16 v21, v19
	s_waitcnt lgkmcnt(1)
	ds_swizzle_b32 v17, v17 offset:swizzle(SWAP,16)
	s_waitcnt lgkmcnt(1)
	ds_swizzle_b32 v21, v21 offset:swizzle(SWAP,8)
	s_waitcnt lgkmcnt(1)
	ds_store_b16 v18, v17
	ds_load_u16 v17, v22
	v_cndmask_b32_e64 v18, 2, 18, vcc_lo
	s_delay_alu instid0(VALU_DEP_1)
	v_or_b32_e32 v18, v0, v18
	s_waitcnt lgkmcnt(0)
	ds_swizzle_b32 v17, v17 offset:swizzle(SWAP,16)
	ds_store_b16 v19, v21
	ds_load_u16 v19, v18
	v_cndmask_b32_e64 v21, 4, 20, vcc_lo
	s_delay_alu instid0(VALU_DEP_1)
	v_or_b32_e32 v21, v0, v21
	s_waitcnt lgkmcnt(2)
	ds_store_b16 v22, v17
	ds_load_u16 v17, v20
	s_waitcnt lgkmcnt(2)
	ds_swizzle_b32 v19, v19 offset:swizzle(SWAP,8)
	v_and_b32_e32 v22, 4, v34
	s_waitcnt lgkmcnt(1)
	ds_swizzle_b32 v17, v17 offset:swizzle(SWAP,16)
	s_waitcnt lgkmcnt(1)
	ds_store_b16 v18, v19
	ds_load_u16 v18, v21
	v_cndmask_b32_e64 v19, 24, 56, s0
	s_delay_alu instid0(VALU_DEP_1)
	v_or_b32_e32 v19, v0, v19
	s_waitcnt lgkmcnt(0)
	ds_swizzle_b32 v18, v18 offset:swizzle(SWAP,8)
	ds_store_b16 v20, v17
	ds_load_u16 v17, v19
	v_cndmask_b32_e64 v20, 6, 22, vcc_lo
	s_delay_alu instid0(VALU_DEP_1)
	v_or_b32_e32 v20, v0, v20
	s_waitcnt lgkmcnt(2)
	ds_store_b16 v21, v18
	ds_load_u16 v18, v20
	s_waitcnt lgkmcnt(2)
	ds_swizzle_b32 v17, v17 offset:swizzle(SWAP,16)
	v_cndmask_b32_e64 v21, 26, 58, s0
	s_delay_alu instid0(VALU_DEP_1)
	v_or_b32_e32 v21, v0, v21
	s_waitcnt lgkmcnt(1)
	ds_swizzle_b32 v18, v18 offset:swizzle(SWAP,8)
	s_waitcnt lgkmcnt(1)
	ds_store_b16 v19, v17
	ds_load_u16 v17, v21
	v_cndmask_b32_e64 v19, 8, 24, vcc_lo
	s_delay_alu instid0(VALU_DEP_1)
	v_or_b32_e32 v19, v0, v19
	s_waitcnt lgkmcnt(0)
	ds_swizzle_b32 v17, v17 offset:swizzle(SWAP,16)
	ds_store_b16 v20, v18
	ds_load_u16 v18, v19
	v_cndmask_b32_e64 v20, 28, 60, s0
	v_cmp_eq_u32_e64 s0, 0, v22
	s_delay_alu instid0(VALU_DEP_2) | instskip(NEXT) | instid1(VALU_DEP_2)
	v_or_b32_e32 v20, v0, v20
	v_cndmask_b32_e64 v25, 6, 14, s0
	s_delay_alu instid0(VALU_DEP_1)
	v_or_b32_e32 v25, v0, v25
	s_waitcnt lgkmcnt(2)
	ds_store_b16 v21, v17
	ds_load_u16 v17, v20
	s_waitcnt lgkmcnt(2)
	ds_swizzle_b32 v18, v18 offset:swizzle(SWAP,8)
	v_lshlrev_b32_e32 v21, 1, v22
	v_cndmask_b32_e64 v22, 2, 10, s0
	s_delay_alu instid0(VALU_DEP_2) | instskip(NEXT) | instid1(VALU_DEP_2)
	v_xor_b32_e32 v21, 8, v21
	v_or_b32_e32 v22, v0, v22
	s_delay_alu instid0(VALU_DEP_2)
	v_or_b32_e32 v21, v0, v21
	s_waitcnt lgkmcnt(1)
	ds_swizzle_b32 v17, v17 offset:swizzle(SWAP,16)
	s_waitcnt lgkmcnt(1)
	ds_store_b16 v19, v18
	ds_load_u16 v18, v23
	ds_load_u16 v19, v21
	s_waitcnt lgkmcnt(1)
	ds_swizzle_b32 v18, v18 offset:swizzle(SWAP,8)
	s_waitcnt lgkmcnt(1)
	ds_swizzle_b32 v19, v19 offset:swizzle(SWAP,4)
	ds_store_b16 v20, v17
	ds_load_u16 v17, v24
	v_cndmask_b32_e64 v20, 12, 28, vcc_lo
	s_delay_alu instid0(VALU_DEP_1)
	v_or_b32_e32 v20, v0, v20
	s_waitcnt lgkmcnt(2)
	ds_store_b16 v21, v19
	v_cndmask_b32_e64 v21, 32, 48, vcc_lo
	s_waitcnt lgkmcnt(1)
	ds_swizzle_b32 v17, v17 offset:swizzle(SWAP,16)
	ds_store_b16 v23, v18
	ds_load_u16 v18, v20
	ds_load_u16 v19, v22
	v_or_b32_e32 v21, v0, v21
	v_cndmask_b32_e64 v23, 14, 30, vcc_lo
	s_delay_alu instid0(VALU_DEP_1)
	v_or_b32_e32 v23, v0, v23
	s_waitcnt lgkmcnt(3)
	ds_store_b16 v24, v17
	ds_load_u16 v17, v21
	s_waitcnt lgkmcnt(3)
	ds_swizzle_b32 v18, v18 offset:swizzle(SWAP,8)
	v_cndmask_b32_e64 v24, 4, 12, s0
	s_delay_alu instid0(VALU_DEP_1)
	v_or_b32_e32 v24, v0, v24
	s_waitcnt lgkmcnt(1)
	ds_swizzle_b32 v17, v17 offset:swizzle(SWAP,8)
	s_waitcnt lgkmcnt(1)
	ds_store_b16 v20, v18
	v_cndmask_b32_e64 v20, 34, 50, vcc_lo
	ds_load_u16 v18, v23
	v_or_b32_e32 v20, v0, v20
	s_waitcnt lgkmcnt(2)
	ds_store_b16 v21, v17
	ds_load_u16 v17, v20
	ds_swizzle_b32 v19, v19 offset:swizzle(SWAP,4)
	s_waitcnt lgkmcnt(3)
	ds_swizzle_b32 v18, v18 offset:swizzle(SWAP,8)
	s_waitcnt lgkmcnt(2)
	;; [unrolled: 2-line block ×3, first 2 shown]
	ds_store_b16 v22, v19
	ds_load_u16 v19, v24
	v_and_b32_e32 v22, 2, v34
	s_delay_alu instid0(VALU_DEP_1) | instskip(SKIP_1) | instid1(VALU_DEP_2)
	v_lshlrev_b32_e32 v21, 1, v22
	v_cmp_eq_u32_e64 s1, 0, v22
	v_xor_b32_e32 v21, 4, v21
	s_delay_alu instid0(VALU_DEP_2)
	v_cndmask_b32_e64 v22, 2, 6, s1
	v_cndmask_b32_e64 v26, 8, 12, s1
	;; [unrolled: 1-line block ×4, first 2 shown]
	v_or_b32_e32 v21, v0, v21
	v_or_b32_e32 v22, v0, v22
	;; [unrolled: 1-line block ×4, first 2 shown]
	s_waitcnt lgkmcnt(0)
	ds_swizzle_b32 v19, v19 offset:swizzle(SWAP,4)
	v_or_b32_e32 v28, v0, v28
	v_cndmask_b32_e64 v30, 18, 22, s1
	v_cndmask_b32_e64 v36, 26, 30, s1
	;; [unrolled: 1-line block ×4, first 2 shown]
	ds_store_b16 v23, v18
	s_waitcnt lgkmcnt(1)
	ds_store_b16 v24, v19
	v_cndmask_b32_e64 v23, 36, 52, vcc_lo
	ds_load_u16 v18, v25
	ds_load_u16 v19, v21
	ds_store_b16 v20, v17
	v_cndmask_b32_e64 v20, 16, 24, s0
	v_or_b32_e32 v30, v0, v30
	v_or_b32_e32 v23, v0, v23
	;; [unrolled: 1-line block ×3, first 2 shown]
	s_delay_alu instid0(VALU_DEP_4)
	v_or_b32_e32 v20, v0, v20
	ds_load_u16 v17, v23
	ds_load_u16 v24, v20
	s_waitcnt lgkmcnt(4)
	ds_swizzle_b32 v18, v18 offset:swizzle(SWAP,4)
	s_waitcnt lgkmcnt(4)
	ds_swizzle_b32 v19, v19 offset:swizzle(SWAP,2)
	s_waitcnt lgkmcnt(1)
	ds_store_b16 v25, v18
	s_waitcnt lgkmcnt(1)
	ds_store_b16 v21, v19
	ds_swizzle_b32 v17, v17 offset:swizzle(SWAP,8)
	v_cndmask_b32_e64 v19, 38, 54, vcc_lo
	ds_load_u16 v18, v22
	ds_swizzle_b32 v21, v24 offset:swizzle(SWAP,4)
	v_cndmask_b32_e64 v25, 18, 26, s0
	v_and_b32_e32 v24, 1, v34
	v_or_b32_e32 v19, v0, v19
	s_delay_alu instid0(VALU_DEP_3) | instskip(NEXT) | instid1(VALU_DEP_3)
	v_or_b32_e32 v25, v0, v25
	v_cmp_eq_u32_e64 s2, 0, v24
	s_delay_alu instid0(VALU_DEP_1)
	v_cndmask_b32_e64 v29, 8, 10, s2
	v_cndmask_b32_e64 v31, 12, 14, s2
	;; [unrolled: 1-line block ×5, first 2 shown]
	s_waitcnt lgkmcnt(2)
	ds_store_b16 v23, v17
	ds_load_u16 v17, v19
	s_waitcnt lgkmcnt(3)
	ds_swizzle_b32 v18, v18 offset:swizzle(SWAP,2)
	s_waitcnt lgkmcnt(3)
	ds_store_b16 v20, v21
	v_lshlrev_b32_e32 v23, 1, v24
	ds_load_u16 v20, v25
	ds_load_u16 v21, v26
	v_cndmask_b32_e64 v24, 4, 6, s2
	v_or_b32_e32 v29, v0, v29
	v_or_b32_e32 v31, v0, v31
	v_xor_b32_e32 v23, 2, v23
	v_cndmask_b32_e64 v40, 28, 30, s2
	v_or_b32_e32 v24, v0, v24
	v_cndmask_b32_e64 v41, 32, 34, s2
	v_cndmask_b32_e64 v45, 36, 38, s2
	v_or_b32_e32 v23, v0, v23
	v_or_b32_e32 v40, v0, v40
	v_cndmask_b32_e64 v46, 44, 46, s2
	v_or_b32_e32 v41, v0, v41
	v_cndmask_b32_e64 v49, 56, 58, s2
	v_cndmask_b32_e64 v47, 48, 50, s2
	;; [unrolled: 1-line block ×3, first 2 shown]
	s_waitcnt lgkmcnt(4)
	ds_swizzle_b32 v17, v17 offset:swizzle(SWAP,8)
	s_waitcnt lgkmcnt(4)
	ds_store_b16 v22, v18
	v_cndmask_b32_e64 v22, 40, 56, vcc_lo
	ds_load_u16 v18, v23
	s_waitcnt lgkmcnt(4)
	ds_swizzle_b32 v20, v20 offset:swizzle(SWAP,4)
	s_waitcnt lgkmcnt(4)
	ds_swizzle_b32 v21, v21 offset:swizzle(SWAP,2)
	v_cndmask_b32_e64 v48, 52, 54, s2
	v_or_b32_e32 v22, v0, v22
	v_or_b32_e32 v46, v0, v46
	;; [unrolled: 1-line block ×6, first 2 shown]
	s_waitcnt lgkmcnt(4)
	ds_store_b16 v19, v17
	ds_load_u16 v17, v22
	v_cndmask_b32_e64 v19, 20, 28, s0
	s_waitcnt lgkmcnt(3)
	ds_store_b16 v25, v20
	s_waitcnt lgkmcnt(3)
	ds_store_b16 v26, v21
	v_cndmask_b32_e64 v26, 42, 58, vcc_lo
	ds_swizzle_b32 v18, v18 offset:swizzle(SWAP,1)
	v_or_b32_e32 v19, v0, v19
	ds_load_u16 v20, v19
	ds_load_u16 v21, v27
	;; [unrolled: 1-line block ×3, first 2 shown]
	v_or_b32_e32 v26, v0, v26
	s_waitcnt lgkmcnt(6)
	ds_swizzle_b32 v17, v17 offset:swizzle(SWAP,8)
	s_waitcnt lgkmcnt(3)
	ds_swizzle_b32 v20, v20 offset:swizzle(SWAP,4)
	;; [unrolled: 2-line block ×4, first 2 shown]
	s_waitcnt lgkmcnt(3)
	ds_store_b16 v22, v17
	ds_load_u16 v17, v26
	v_cndmask_b32_e64 v22, 22, 30, s0
	s_waitcnt lgkmcnt(4)
	ds_store_b16 v19, v20
	s_waitcnt lgkmcnt(4)
	ds_store_b16 v27, v21
	v_or_b32_e32 v22, v0, v22
	ds_load_u16 v19, v22
	ds_load_u16 v20, v28
	;; [unrolled: 1-line block ×3, first 2 shown]
	v_cndmask_b32_e64 v27, 44, 60, vcc_lo
	s_waitcnt lgkmcnt(5)
	ds_swizzle_b32 v17, v17 offset:swizzle(SWAP,8)
	v_or_b32_e32 v27, v0, v27
	s_waitcnt lgkmcnt(3)
	ds_swizzle_b32 v19, v19 offset:swizzle(SWAP,4)
	s_waitcnt lgkmcnt(3)
	ds_swizzle_b32 v20, v20 offset:swizzle(SWAP,2)
	;; [unrolled: 2-line block ×3, first 2 shown]
	s_waitcnt lgkmcnt(3)
	ds_store_b16 v26, v17
	v_cndmask_b32_e64 v26, 32, 40, s0
	ds_load_u16 v17, v27
	v_or_b32_e32 v26, v0, v26
	ds_load_u16 v32, v26
	s_waitcnt lgkmcnt(5)
	ds_store_b16 v22, v19
	s_waitcnt lgkmcnt(5)
	ds_store_b16 v28, v20
	ds_load_u16 v19, v30
	ds_load_u16 v20, v31
	v_cndmask_b32_e64 v22, 46, 62, vcc_lo
	s_delay_alu instid0(VALU_DEP_1)
	v_or_b32_e32 v22, v0, v22
	s_waitcnt lgkmcnt(5)
	ds_swizzle_b32 v17, v17 offset:swizzle(SWAP,8)
	s_waitcnt lgkmcnt(5)
	ds_swizzle_b32 v28, v32 offset:swizzle(SWAP,4)
	;; [unrolled: 2-line block ×3, first 2 shown]
	v_cndmask_b32_e64 v32, 24, 28, s1
	s_waitcnt lgkmcnt(3)
	ds_swizzle_b32 v20, v20 offset:swizzle(SWAP,1)
	s_waitcnt lgkmcnt(3)
	ds_store_b16 v27, v17
	v_cndmask_b32_e64 v27, 34, 42, s0
	ds_load_u16 v17, v22
	v_or_b32_e32 v27, v0, v27
	s_waitcnt lgkmcnt(4)
	ds_store_b16 v26, v28
	v_or_b32_e32 v28, v0, v32
	ds_load_u16 v26, v27
	v_or_b32_e32 v32, v0, v35
	s_waitcnt lgkmcnt(5)
	ds_store_b16 v30, v19
	ds_load_u16 v19, v28
	ds_load_u16 v30, v32
	v_cndmask_b32_e64 v35, 48, 56, s0
	s_waitcnt lgkmcnt(5)
	ds_swizzle_b32 v17, v17 offset:swizzle(SWAP,8)
	v_or_b32_e32 v35, v0, v35
	s_waitcnt lgkmcnt(4)
	ds_swizzle_b32 v26, v26 offset:swizzle(SWAP,4)
	s_waitcnt lgkmcnt(3)
	ds_swizzle_b32 v19, v19 offset:swizzle(SWAP,2)
	;; [unrolled: 2-line block ×3, first 2 shown]
	s_waitcnt lgkmcnt(3)
	ds_store_b16 v22, v17
	v_cndmask_b32_e64 v22, 36, 44, s0
	ds_load_u16 v17, v35
	v_or_b32_e32 v22, v0, v22
	s_waitcnt lgkmcnt(4)
	ds_store_b16 v27, v26
	v_or_b32_e32 v27, v0, v36
	ds_load_u16 v26, v22
	v_or_b32_e32 v36, v0, v37
	s_waitcnt lgkmcnt(5)
	ds_store_b16 v28, v19
	ds_load_u16 v19, v27
	ds_load_u16 v28, v36
	v_cndmask_b32_e64 v37, 50, 58, s0
	s_waitcnt lgkmcnt(5)
	ds_swizzle_b32 v17, v17 offset:swizzle(SWAP,4)
	v_or_b32_e32 v37, v0, v37
	s_waitcnt lgkmcnt(4)
	ds_swizzle_b32 v26, v26 offset:swizzle(SWAP,4)
	s_waitcnt lgkmcnt(3)
	ds_swizzle_b32 v19, v19 offset:swizzle(SWAP,2)
	;; [unrolled: 2-line block ×3, first 2 shown]
	s_waitcnt lgkmcnt(2)
	ds_store_b16 v22, v26
	ds_store_b16 v35, v17
	ds_load_u16 v17, v37
	v_cndmask_b32_e64 v35, 38, 46, s0
	v_or_b32_e32 v22, v0, v38
	v_or_b32_e32 v26, v0, v39
	s_waitcnt lgkmcnt(4)
	ds_store_b16 v27, v19
	v_cndmask_b32_e64 v39, 52, 60, s0
	v_or_b32_e32 v35, v0, v35
	s_delay_alu instid0(VALU_DEP_2)
	v_or_b32_e32 v39, v0, v39
	ds_load_u16 v38, v35
	ds_load_u16 v19, v22
	ds_load_u16 v27, v26
	s_waitcnt lgkmcnt(4)
	ds_swizzle_b32 v17, v17 offset:swizzle(SWAP,4)
	s_waitcnt lgkmcnt(3)
	ds_swizzle_b32 v38, v38 offset:swizzle(SWAP,4)
	;; [unrolled: 2-line block ×4, first 2 shown]
	s_waitcnt lgkmcnt(3)
	ds_store_b16 v37, v17
	ds_load_u16 v17, v39
	v_cndmask_b32_e64 v37, 34, 38, s1
	s_delay_alu instid0(VALU_DEP_1)
	v_or_b32_e32 v37, v0, v37
	s_waitcnt lgkmcnt(4)
	ds_store_b16 v35, v38
	s_waitcnt lgkmcnt(4)
	ds_store_b16 v22, v19
	v_cndmask_b32_e64 v35, 54, 62, s0
	ds_load_u16 v19, v37
	ds_load_u16 v22, v40
	v_cndmask_b32_e64 v38, 40, 44, s1
	v_or_b32_e32 v35, v0, v35
	s_delay_alu instid0(VALU_DEP_2)
	v_or_b32_e32 v38, v0, v38
	s_waitcnt lgkmcnt(4)
	ds_swizzle_b32 v17, v17 offset:swizzle(SWAP,4)
	s_waitcnt lgkmcnt(2)
	ds_swizzle_b32 v19, v19 offset:swizzle(SWAP,2)
	;; [unrolled: 2-line block ×3, first 2 shown]
	s_waitcnt lgkmcnt(2)
	ds_store_b16 v39, v17
	ds_load_u16 v17, v35
	v_cndmask_b32_e64 v39, 48, 52, s1
	s_delay_alu instid0(VALU_DEP_1)
	v_or_b32_e32 v39, v0, v39
	ds_load_u16 v42, v38
	ds_load_u16 v43, v39
	s_waitcnt lgkmcnt(2)
	ds_swizzle_b32 v17, v17 offset:swizzle(SWAP,4)
	ds_store_b16 v37, v19
	v_cndmask_b32_e64 v37, 56, 60, s1
	ds_load_u16 v19, v41
	v_or_b32_e32 v37, v0, v37
	s_waitcnt lgkmcnt(4)
	ds_swizzle_b32 v42, v42 offset:swizzle(SWAP,2)
	s_waitcnt lgkmcnt(4)
	ds_swizzle_b32 v43, v43 offset:swizzle(SWAP,2)
	s_waitcnt lgkmcnt(4)
	ds_store_b16 v35, v17
	ds_load_u16 v17, v37
	v_cndmask_b32_e64 v35, 42, 46, s1
	s_waitcnt lgkmcnt(3)
	ds_store_b16 v38, v42
	s_waitcnt lgkmcnt(3)
	ds_store_b16 v39, v43
	v_or_b32_e32 v38, v0, v45
	v_cndmask_b32_e64 v45, 58, 62, s1
	v_or_b32_e32 v35, v0, v35
	ds_load_u16 v39, v35
	ds_load_u16 v42, v44
	;; [unrolled: 1-line block ×3, first 2 shown]
	v_or_b32_e32 v45, v0, v45
	ds_swizzle_b32 v19, v19 offset:swizzle(SWAP,1)
	s_waitcnt lgkmcnt(6)
	ds_swizzle_b32 v17, v17 offset:swizzle(SWAP,2)
	s_waitcnt lgkmcnt(4)
	;; [unrolled: 2-line block ×5, first 2 shown]
	ds_store_b16 v37, v17
	ds_load_u16 v17, v45
	v_cndmask_b32_e64 v37, 40, 42, s2
	s_waitcnt lgkmcnt(4)
	ds_store_b16 v35, v39
	s_waitcnt lgkmcnt(4)
	ds_store_b16 v44, v42
	v_or_b32_e32 v37, v0, v37
	ds_load_u16 v35, v37
	ds_load_u16 v39, v46
	ds_load_u16 v42, v47
	ds_load_u16 v44, v48
	s_waitcnt lgkmcnt(6)
	ds_swizzle_b32 v17, v17 offset:swizzle(SWAP,2)
	s_waitcnt lgkmcnt(4)
	ds_swizzle_b32 v35, v35 offset:swizzle(SWAP,1)
	s_waitcnt lgkmcnt(4)
	ds_swizzle_b32 v39, v39 offset:swizzle(SWAP,1)
	s_waitcnt lgkmcnt(4)
	ds_swizzle_b32 v42, v42 offset:swizzle(SWAP,1)
	s_waitcnt lgkmcnt(4)
	ds_swizzle_b32 v44, v44 offset:swizzle(SWAP,1)
	s_waitcnt lgkmcnt(4)
	ds_store_b16 v45, v17
	ds_load_u16 v17, v49
	ds_load_u16 v45, v50
	ds_store_b16 v36, v28
	ds_store_b16 v26, v27
	;; [unrolled: 1-line block ×5, first 2 shown]
	s_waitcnt lgkmcnt(11)
	ds_store_b16 v37, v35
	ds_store_b16 v23, v18
	s_waitcnt lgkmcnt(12)
	ds_store_b16 v46, v39
	ds_store_b16 v24, v25
	;; [unrolled: 3-line block ×4, first 2 shown]
	ds_store_b16 v32, v30
	s_waitcnt lgkmcnt(15)
	ds_swizzle_b32 v51, v17 offset:swizzle(SWAP,1)
	s_waitcnt lgkmcnt(15)
	ds_swizzle_b32 v45, v45 offset:swizzle(SWAP,1)
	ds_load_b128 v[17:20], v0
	ds_load_b128 v[21:24], v0 offset:16
	s_waitcnt lgkmcnt(3)
	ds_store_b16 v49, v51
	s_waitcnt lgkmcnt(3)
	ds_store_b16 v50, v45
	ds_load_b128 v[25:28], v0 offset:48
	ds_load_b128 v[29:32], v0 offset:32
	s_and_not1_b32 vcc_lo, exec_lo, s3
	s_cbranch_vccz .LBB10_3
	s_branch .LBB10_4
.LBB10_2:
                                        ; implicit-def: $vgpr28
                                        ; implicit-def: $vgpr32
                                        ; implicit-def: $vgpr24
                                        ; implicit-def: $vgpr20
.LBB10_3:
	v_and_b32_e32 v0, 16, v34
	s_waitcnt vmcnt(3)
	scratch_store_b128 off, v[13:16], off
	s_waitcnt vmcnt(2)
	scratch_store_b128 off, v[9:12], off offset:16
	s_waitcnt vmcnt(1)
	scratch_store_b128 off, v[5:8], off offset:32
	s_waitcnt lgkmcnt(5)
	v_lshlrev_b32_e32 v17, 1, v0
	v_cmp_eq_u32_e32 vcc_lo, 0, v0
	s_delay_alu instid0(VALU_DEP_2)
	v_xor_b32_e32 v17, 32, v17
	v_cndmask_b32_e64 v0, 2, 34, vcc_lo
	v_cndmask_b32_e64 v6, 4, 36, vcc_lo
	;; [unrolled: 1-line block ×3, first 2 shown]
	scratch_load_u16 v5, v17, off
	s_waitcnt vmcnt(0)
	ds_swizzle_b32 v5, v5 offset:swizzle(SWAP,16)
	s_waitcnt lgkmcnt(0)
	scratch_store_b16 v17, v5, off
	scratch_load_u16 v5, v0, off
	s_waitcnt vmcnt(0)
	ds_swizzle_b32 v5, v5 offset:swizzle(SWAP,16)
	s_waitcnt lgkmcnt(0)
	scratch_store_b16 v0, v5, off
	scratch_load_u16 v0, v6, off
	v_cndmask_b32_e64 v5, 6, 38, vcc_lo
	s_waitcnt vmcnt(0)
	ds_swizzle_b32 v0, v0 offset:swizzle(SWAP,16)
	s_waitcnt lgkmcnt(0)
	scratch_store_b16 v6, v0, off
	scratch_load_u16 v0, v5, off
	v_cndmask_b32_e64 v6, 8, 40, vcc_lo
	;; [unrolled: 6-line block ×6, first 2 shown]
	s_waitcnt vmcnt(0)
	ds_swizzle_b32 v0, v0 offset:swizzle(SWAP,16)
	scratch_store_b128 off, v[1:4], off offset:48
	s_waitcnt lgkmcnt(0)
	scratch_store_b16 v5, v0, off
	scratch_load_u16 v0, v6, off
	v_cndmask_b32_e64 v1, 18, 50, vcc_lo
	v_and_b32_e32 v2, 8, v34
	v_cndmask_b32_e64 v5, 20, 52, vcc_lo
	s_delay_alu instid0(VALU_DEP_2) | instskip(SKIP_1) | instid1(VALU_DEP_2)
	v_lshlrev_b32_e32 v3, 1, v2
	v_cmp_eq_u32_e64 s0, 0, v2
	v_xor_b32_e32 v3, 16, v3
	s_delay_alu instid0(VALU_DEP_2)
	v_cndmask_b32_e64 v10, 42, 58, s0
	s_waitcnt vmcnt(0)
	ds_swizzle_b32 v0, v0 offset:swizzle(SWAP,16)
	s_waitcnt lgkmcnt(0)
	scratch_store_b16 v6, v0, off
	s_clause 0x1
	scratch_load_u16 v0, v1, off
	scratch_load_u16 v4, v3, off
	v_cndmask_b32_e64 v6, 10, 26, s0
	s_waitcnt vmcnt(1)
	ds_swizzle_b32 v0, v0 offset:swizzle(SWAP,16)
	s_waitcnt vmcnt(0)
	ds_swizzle_b32 v4, v4 offset:swizzle(SWAP,8)
	s_waitcnt lgkmcnt(1)
	scratch_store_b16 v1, v0, off
	scratch_load_u16 v0, v5, off
	v_cndmask_b32_e64 v1, 2, 18, s0
	s_waitcnt vmcnt(0)
	ds_swizzle_b32 v0, v0 offset:swizzle(SWAP,16)
	s_waitcnt lgkmcnt(1)
	scratch_store_b16 v3, v4, off
	scratch_load_u16 v2, v1, off
	v_cndmask_b32_e64 v3, 22, 54, vcc_lo
	v_cndmask_b32_e64 v4, 4, 20, s0
	s_waitcnt lgkmcnt(0)
	scratch_store_b16 v5, v0, off
	scratch_load_u16 v0, v3, off
	v_and_b32_e32 v5, 4, v34
	s_waitcnt vmcnt(1)
	ds_swizzle_b32 v2, v2 offset:swizzle(SWAP,8)
	s_waitcnt vmcnt(0)
	ds_swizzle_b32 v0, v0 offset:swizzle(SWAP,16)
	s_waitcnt lgkmcnt(1)
	scratch_store_b16 v1, v2, off
	scratch_load_u16 v1, v4, off
	v_cndmask_b32_e64 v2, 24, 56, vcc_lo
	s_waitcnt vmcnt(0)
	ds_swizzle_b32 v1, v1 offset:swizzle(SWAP,8)
	s_waitcnt lgkmcnt(1)
	scratch_store_b16 v3, v0, off
	scratch_load_u16 v0, v2, off
	v_cndmask_b32_e64 v3, 6, 22, s0
	s_waitcnt lgkmcnt(0)
	scratch_store_b16 v4, v1, off
	scratch_load_u16 v1, v3, off
	v_cndmask_b32_e64 v4, 26, 58, vcc_lo
	s_waitcnt vmcnt(1)
	ds_swizzle_b32 v0, v0 offset:swizzle(SWAP,16)
	s_waitcnt vmcnt(0)
	ds_swizzle_b32 v1, v1 offset:swizzle(SWAP,8)
	s_waitcnt lgkmcnt(1)
	scratch_store_b16 v2, v0, off
	scratch_load_u16 v0, v4, off
	v_cndmask_b32_e64 v2, 8, 24, s0
	s_waitcnt vmcnt(0)
	ds_swizzle_b32 v0, v0 offset:swizzle(SWAP,16)
	s_waitcnt lgkmcnt(1)
	scratch_store_b16 v3, v1, off
	scratch_load_u16 v1, v2, off
	v_cndmask_b32_e64 v3, 28, 60, vcc_lo
	v_cmp_eq_u32_e32 vcc_lo, 0, v5
	v_cndmask_b32_e64 v18, 50, 58, vcc_lo
	v_cndmask_b32_e64 v22, 52, 60, vcc_lo
	s_waitcnt lgkmcnt(0)
	scratch_store_b16 v4, v0, off
	scratch_load_u16 v0, v3, off
	v_lshlrev_b32_e32 v4, 1, v5
	v_cndmask_b32_e64 v5, 12, 28, s0
	s_delay_alu instid0(VALU_DEP_2) | instskip(NEXT) | instid1(VALU_DEP_1)
	v_xor_b32_e32 v4, 8, v4
	v_or_b32_e32 v4, 0, v4
	s_waitcnt vmcnt(1)
	ds_swizzle_b32 v1, v1 offset:swizzle(SWAP,8)
	s_waitcnt vmcnt(0)
	ds_swizzle_b32 v0, v0 offset:swizzle(SWAP,16)
	s_waitcnt lgkmcnt(1)
	scratch_store_b16 v2, v1, off
	s_clause 0x1
	scratch_load_u16 v1, v6, off
	scratch_load_u16 v2, v4, off
	s_waitcnt vmcnt(1)
	ds_swizzle_b32 v1, v1 offset:swizzle(SWAP,8)
	s_waitcnt vmcnt(0)
	ds_swizzle_b32 v2, v2 offset:swizzle(SWAP,4)
	s_waitcnt lgkmcnt(2)
	scratch_store_b16 v3, v0, off
	scratch_load_u16 v0, v7, off
	v_cndmask_b32_e64 v3, 2, 10, vcc_lo
	s_delay_alu instid0(VALU_DEP_1)
	v_or_b32_e32 v3, 0, v3
	s_waitcnt lgkmcnt(1)
	scratch_store_b16 v6, v1, off
	s_waitcnt lgkmcnt(0)
	scratch_store_b16 v4, v2, off
	s_clause 0x1
	scratch_load_u16 v1, v5, off
	scratch_load_u16 v2, v3, off
	v_cndmask_b32_e64 v4, 32, 48, s0
	v_cndmask_b32_e64 v6, 4, 12, vcc_lo
	s_delay_alu instid0(VALU_DEP_1)
	v_or_b32_e32 v6, 0, v6
	s_waitcnt vmcnt(2)
	ds_swizzle_b32 v0, v0 offset:swizzle(SWAP,16)
	s_waitcnt lgkmcnt(0)
	scratch_store_b16 v7, v0, off
	scratch_load_u16 v0, v4, off
	s_waitcnt vmcnt(2)
	ds_swizzle_b32 v1, v1 offset:swizzle(SWAP,8)
	s_waitcnt vmcnt(1)
	ds_swizzle_b32 v2, v2 offset:swizzle(SWAP,4)
	v_cndmask_b32_e64 v7, 14, 30, s0
	s_waitcnt vmcnt(0)
	ds_swizzle_b32 v0, v0 offset:swizzle(SWAP,8)
	s_waitcnt lgkmcnt(1)
	s_clause 0x1
	scratch_store_b16 v3, v2, off
	scratch_store_b16 v5, v1, off
	s_clause 0x1
	scratch_load_u16 v1, v7, off
	scratch_load_u16 v2, v6, off
	v_cndmask_b32_e64 v3, 34, 50, s0
	s_waitcnt lgkmcnt(0)
	scratch_store_b16 v4, v0, off
	scratch_load_u16 v0, v3, off
	v_cndmask_b32_e64 v4, 6, 14, vcc_lo
	s_delay_alu instid0(VALU_DEP_1)
	v_or_b32_e32 v4, 0, v4
	s_waitcnt vmcnt(2)
	ds_swizzle_b32 v1, v1 offset:swizzle(SWAP,8)
	s_waitcnt vmcnt(1)
	ds_swizzle_b32 v2, v2 offset:swizzle(SWAP,4)
	s_waitcnt lgkmcnt(1)
	scratch_store_b16 v7, v1, off
	s_waitcnt lgkmcnt(0)
	scratch_store_b16 v6, v2, off
	v_and_b32_e32 v1, 2, v34
	scratch_load_u16 v2, v4, off
	s_waitcnt vmcnt(1)
	ds_swizzle_b32 v0, v0 offset:swizzle(SWAP,8)
	v_cndmask_b32_e64 v7, 36, 52, s0
	v_lshlrev_b32_e32 v5, 1, v1
	v_cmp_eq_u32_e64 s1, 0, v1
	s_delay_alu instid0(VALU_DEP_2) | instskip(NEXT) | instid1(VALU_DEP_2)
	v_xor_b32_e32 v5, 4, v5
	v_cndmask_b32_e64 v1, 2, 6, s1
	v_cndmask_b32_e64 v14, 18, 22, s1
	;; [unrolled: 1-line block ×4, first 2 shown]
	v_or_b32_e32 v5, 0, v5
	v_or_b32_e32 v1, 0, v1
	v_cndmask_b32_e64 v23, 34, 38, s1
	scratch_load_u16 v6, v5, off
	s_waitcnt lgkmcnt(0)
	scratch_store_b16 v3, v0, off
	scratch_load_u16 v0, v7, off
	v_cndmask_b32_e64 v3, 16, 24, vcc_lo
	scratch_load_u16 v8, v3, off
	s_waitcnt vmcnt(3)
	ds_swizzle_b32 v2, v2 offset:swizzle(SWAP,4)
	s_waitcnt vmcnt(2)
	ds_swizzle_b32 v6, v6 offset:swizzle(SWAP,2)
	s_waitcnt lgkmcnt(1)
	scratch_store_b16 v4, v2, off
	s_waitcnt lgkmcnt(0)
	scratch_store_b16 v5, v6, off
	s_waitcnt vmcnt(1)
	ds_swizzle_b32 v0, v0 offset:swizzle(SWAP,8)
	s_waitcnt vmcnt(0)
	ds_swizzle_b32 v5, v8 offset:swizzle(SWAP,4)
	v_cndmask_b32_e64 v4, 38, 54, s0
	scratch_load_u16 v2, v1, off
	v_cndmask_b32_e64 v6, 18, 26, vcc_lo
	s_waitcnt lgkmcnt(1)
	scratch_store_b16 v7, v0, off
	s_waitcnt lgkmcnt(0)
	scratch_store_b16 v3, v5, off
	scratch_load_u16 v0, v4, off
	v_cndmask_b32_e64 v5, 8, 12, s1
	scratch_load_u16 v3, v6, off
	v_and_b32_e32 v7, 1, v34
	v_or_b32_e32 v5, 0, v5
	s_delay_alu instid0(VALU_DEP_2)
	v_cmp_eq_u32_e64 s2, 0, v7
	v_lshlrev_b32_e32 v9, 1, v7
	scratch_load_u16 v8, v5, off
	v_cndmask_b32_e64 v7, 4, 6, s2
	v_xor_b32_e32 v9, 2, v9
	v_cndmask_b32_e64 v12, 8, 10, s2
	v_cndmask_b32_e64 v16, 16, 18, s2
	v_cndmask_b32_e64 v21, 24, 26, s2
	v_or_b32_e32 v7, 0, v7
	v_or_b32_e32 v9, 0, v9
	v_or_b32_e32 v12, 0, v12
	v_cndmask_b32_e64 v25, 48, 50, s2
	v_cndmask_b32_e64 v26, 52, 54, s2
	;; [unrolled: 1-line block ×4, first 2 shown]
	s_waitcnt vmcnt(3)
	ds_swizzle_b32 v2, v2 offset:swizzle(SWAP,2)
	s_waitcnt vmcnt(2)
	ds_swizzle_b32 v0, v0 offset:swizzle(SWAP,8)
	s_waitcnt lgkmcnt(1)
	scratch_store_b16 v1, v2, off
	v_cndmask_b32_e64 v2, 40, 56, s0
	s_waitcnt vmcnt(1)
	ds_swizzle_b32 v3, v3 offset:swizzle(SWAP,4)
	scratch_load_u16 v1, v9, off
	s_waitcnt vmcnt(1)
	ds_swizzle_b32 v8, v8 offset:swizzle(SWAP,2)
	s_waitcnt lgkmcnt(2)
	scratch_store_b16 v4, v0, off
	scratch_load_u16 v0, v2, off
	v_cndmask_b32_e64 v4, 20, 28, vcc_lo
	s_waitcnt lgkmcnt(1)
	scratch_store_b16 v6, v3, off
	v_cndmask_b32_e64 v6, 10, 14, s1
	scratch_load_u16 v3, v4, off
	v_or_b32_e32 v6, 0, v6
	s_waitcnt lgkmcnt(0)
	scratch_store_b16 v5, v8, off
	s_clause 0x1
	scratch_load_u16 v8, v7, off
	scratch_load_u16 v5, v6, off
	s_waitcnt vmcnt(3)
	ds_swizzle_b32 v0, v0 offset:swizzle(SWAP,8)
	s_waitcnt vmcnt(2)
	ds_swizzle_b32 v3, v3 offset:swizzle(SWAP,4)
	;; [unrolled: 2-line block ×4, first 2 shown]
	s_waitcnt lgkmcnt(3)
	scratch_store_b16 v2, v0, off
	scratch_load_u16 v0, v10, off
	v_cndmask_b32_e64 v2, 22, 30, vcc_lo
	s_waitcnt lgkmcnt(2)
	scratch_store_b16 v4, v3, off
	v_cndmask_b32_e64 v4, 16, 20, s1
	s_clause 0x1
	scratch_load_u16 v3, v2, off
	scratch_load_u16 v11, v4, off
	s_waitcnt lgkmcnt(0)
	scratch_store_b16 v6, v5, off
	scratch_load_u16 v5, v12, off
	v_cndmask_b32_e64 v6, 44, 60, s0
	s_waitcnt vmcnt(3)
	ds_swizzle_b32 v0, v0 offset:swizzle(SWAP,8)
	s_waitcnt vmcnt(0)
	ds_swizzle_b32 v5, v5 offset:swizzle(SWAP,1)
	s_waitcnt lgkmcnt(1)
	scratch_store_b16 v10, v0, off
	scratch_load_u16 v0, v6, off
	v_cndmask_b32_e64 v10, 32, 40, vcc_lo
	ds_swizzle_b32 v3, v3 offset:swizzle(SWAP,4)
	ds_swizzle_b32 v11, v11 offset:swizzle(SWAP,2)
	;; [unrolled: 1-line block ×3, first 2 shown]
	scratch_load_u16 v13, v10, off
	s_waitcnt lgkmcnt(2)
	scratch_store_b16 v2, v3, off
	s_waitcnt lgkmcnt(1)
	scratch_store_b16 v4, v11, off
	v_cndmask_b32_e64 v3, 12, 14, s2
	scratch_load_u16 v2, v14, off
	v_or_b32_e32 v3, 0, v3
	scratch_load_u16 v4, v3, off
	s_waitcnt vmcnt(3)
	ds_swizzle_b32 v0, v0 offset:swizzle(SWAP,8)
	s_waitcnt vmcnt(2)
	ds_swizzle_b32 v11, v13 offset:swizzle(SWAP,4)
	v_cndmask_b32_e64 v13, 46, 62, s0
	s_waitcnt lgkmcnt(1)
	scratch_store_b16 v6, v0, off
	v_cndmask_b32_e64 v6, 34, 42, vcc_lo
	scratch_load_u16 v0, v13, off
	s_waitcnt vmcnt(2)
	ds_swizzle_b32 v2, v2 offset:swizzle(SWAP,2)
	s_waitcnt lgkmcnt(1)
	scratch_store_b16 v10, v11, off
	v_cndmask_b32_e64 v10, 24, 28, s1
	s_clause 0x1
	scratch_load_u16 v11, v6, off
	scratch_load_u16 v15, v10, off
	s_waitcnt vmcnt(3)
	ds_swizzle_b32 v4, v4 offset:swizzle(SWAP,1)
	s_waitcnt vmcnt(2)
	ds_swizzle_b32 v0, v0 offset:swizzle(SWAP,8)
	;; [unrolled: 2-line block ×4, first 2 shown]
	s_waitcnt lgkmcnt(1)
	scratch_store_b16 v6, v11, off
	s_waitcnt lgkmcnt(0)
	s_clause 0x2
	scratch_store_b16 v10, v15, off
	scratch_store_b16 v14, v2, off
	scratch_store_b16 v13, v0, off
	v_cndmask_b32_e64 v14, 48, 56, vcc_lo
	v_cndmask_b32_e64 v13, 36, 44, vcc_lo
	s_clause 0x1
	scratch_load_u16 v2, v16, off
	scratch_load_u16 v10, v17, off
	v_cndmask_b32_e64 v11, 20, 22, s2
	s_clause 0x2
	scratch_load_u16 v0, v14, off
	scratch_load_u16 v6, v13, off
	;; [unrolled: 1-line block ×3, first 2 shown]
	s_waitcnt vmcnt(4)
	ds_swizzle_b32 v2, v2 offset:swizzle(SWAP,1)
	s_waitcnt vmcnt(3)
	ds_swizzle_b32 v10, v10 offset:swizzle(SWAP,2)
	;; [unrolled: 2-line block ×5, first 2 shown]
	s_waitcnt lgkmcnt(2)
	scratch_store_b16 v14, v0, off
	s_waitcnt lgkmcnt(1)
	scratch_store_b16 v13, v6, off
	v_cndmask_b32_e64 v14, 38, 46, vcc_lo
	s_clause 0x2
	scratch_load_u16 v0, v18, off
	scratch_load_u16 v6, v14, off
	;; [unrolled: 1-line block ×3, first 2 shown]
	s_waitcnt vmcnt(2)
	ds_swizzle_b32 v0, v0 offset:swizzle(SWAP,4)
	s_waitcnt vmcnt(1)
	ds_swizzle_b32 v6, v6 offset:swizzle(SWAP,4)
	scratch_store_b16 v17, v10, off
	scratch_load_u16 v10, v21, off
	s_waitcnt vmcnt(1)
	ds_swizzle_b32 v13, v13 offset:swizzle(SWAP,2)
	s_waitcnt lgkmcnt(2)
	scratch_store_b16 v18, v0, off
	scratch_load_u16 v0, v22, off
	s_waitcnt lgkmcnt(1)
	scratch_store_b16 v14, v6, off
	s_waitcnt lgkmcnt(0)
	scratch_store_b16 v19, v13, off
	v_cndmask_b32_e64 v13, 28, 30, s2
	scratch_load_u16 v14, v13, off
	s_waitcnt vmcnt(2)
	ds_swizzle_b32 v6, v10 offset:swizzle(SWAP,1)
	scratch_load_u16 v10, v23, off
	s_clause 0x3
	scratch_store_b16 v9, v1, off
	scratch_store_b16 v7, v8, off
	;; [unrolled: 1-line block ×4, first 2 shown]
	v_cndmask_b32_e64 v1, 54, 62, vcc_lo
	v_cndmask_b32_e64 v4, 40, 44, s1
	v_cndmask_b32_e64 v7, 48, 52, s1
	v_cndmask_b32_e64 v9, 32, 34, s2
	v_cndmask_b32_e64 v12, 56, 60, s1
	scratch_load_b128 v[17:20], off, off
	scratch_load_u16 v5, v4, off
	s_waitcnt vmcnt(4)
	ds_swizzle_b32 v0, v0 offset:swizzle(SWAP,4)
	s_waitcnt vmcnt(2)
	ds_swizzle_b32 v3, v10 offset:swizzle(SWAP,2)
	s_waitcnt lgkmcnt(1)
	scratch_store_b16 v22, v0, off
	s_clause 0x1
	scratch_load_u16 v0, v1, off
	scratch_load_u16 v8, v7, off
	ds_swizzle_b32 v10, v14 offset:swizzle(SWAP,1)
	v_cndmask_b32_e64 v14, 36, 38, s2
	v_cndmask_b32_e64 v22, 50, 54, s1
	s_waitcnt lgkmcnt(1)
	scratch_store_b16 v23, v3, off
	scratch_load_u16 v3, v9, off
	s_waitcnt vmcnt(3)
	ds_swizzle_b32 v5, v5 offset:swizzle(SWAP,2)
	s_waitcnt lgkmcnt(0)
	scratch_store_b16 v4, v5, off
	s_waitcnt vmcnt(2)
	ds_swizzle_b32 v0, v0 offset:swizzle(SWAP,4)
	s_waitcnt vmcnt(1)
	ds_swizzle_b32 v8, v8 offset:swizzle(SWAP,2)
	;; [unrolled: 2-line block ×3, first 2 shown]
	s_waitcnt lgkmcnt(2)
	scratch_store_b16 v1, v0, off
	scratch_load_u16 v0, v12, off
	v_cndmask_b32_e64 v1, 42, 46, s1
	s_clause 0x1
	scratch_load_u16 v4, v1, off
	scratch_load_u16 v5, v14, off
	s_waitcnt vmcnt(2)
	ds_swizzle_b32 v0, v0 offset:swizzle(SWAP,2)
	s_waitcnt vmcnt(1)
	ds_swizzle_b32 v4, v4 offset:swizzle(SWAP,2)
	s_waitcnt lgkmcnt(3)
	scratch_store_b16 v7, v8, off
	v_cndmask_b32_e64 v8, 58, 62, s1
	scratch_load_u16 v7, v22, off
	s_waitcnt vmcnt(1)
	ds_swizzle_b32 v5, v5 offset:swizzle(SWAP,1)
	s_waitcnt lgkmcnt(2)
	scratch_store_b16 v12, v0, off
	scratch_load_u16 v0, v8, off
	v_cndmask_b32_e64 v12, 40, 42, s2
	s_waitcnt lgkmcnt(1)
	scratch_store_b16 v1, v4, off
	v_cndmask_b32_e64 v4, 44, 46, s2
	scratch_load_u16 v1, v12, off
	s_waitcnt vmcnt(2)
	ds_swizzle_b32 v7, v7 offset:swizzle(SWAP,2)
	s_waitcnt vmcnt(1)
	ds_swizzle_b32 v0, v0 offset:swizzle(SWAP,2)
	;; [unrolled: 2-line block ×3, first 2 shown]
	s_waitcnt lgkmcnt(2)
	scratch_store_b16 v22, v7, off
	s_clause 0x2
	scratch_load_u16 v7, v4, off
	scratch_load_u16 v22, v25, off
	;; [unrolled: 1-line block ×3, first 2 shown]
	s_waitcnt lgkmcnt(1)
	scratch_store_b16 v8, v0, off
	s_clause 0x1
	scratch_load_u16 v0, v27, off
	scratch_load_u16 v8, v28, off
	s_clause 0x3
	scratch_store_b16 v13, v10, off
	scratch_store_b16 v16, v2, off
	scratch_store_b16 v21, v6, off
	scratch_store_b16 v11, v15, off
	s_waitcnt vmcnt(4)
	ds_swizzle_b32 v7, v7 offset:swizzle(SWAP,1)
	s_waitcnt vmcnt(3)
	ds_swizzle_b32 v2, v22 offset:swizzle(SWAP,1)
	s_waitcnt vmcnt(2)
	ds_swizzle_b32 v10, v23 offset:swizzle(SWAP,1)
	scratch_load_b128 v[21:24], off, off offset:16
	s_waitcnt vmcnt(2)
	ds_swizzle_b32 v0, v0 offset:swizzle(SWAP,1)
	s_waitcnt vmcnt(1)
	ds_swizzle_b32 v6, v8 offset:swizzle(SWAP,1)
	s_waitcnt lgkmcnt(5)
	scratch_store_b16 v12, v1, off
	s_waitcnt lgkmcnt(4)
	scratch_store_b16 v4, v7, off
	;; [unrolled: 2-line block ×3, first 2 shown]
	s_waitcnt lgkmcnt(2)
	s_clause 0x1
	scratch_store_b16 v26, v10, off
	scratch_store_b16 v9, v3, off
	s_waitcnt lgkmcnt(1)
	s_clause 0x1
	scratch_store_b16 v27, v0, off
	scratch_store_b16 v14, v5, off
	s_waitcnt lgkmcnt(0)
	scratch_store_b16 v28, v6, off
	s_clause 0x1
	scratch_load_b128 v[29:32], off, off offset:32
	scratch_load_b128 v[25:28], off, off offset:48
.LBB10_4:
	v_lshlrev_b32_e32 v0, 1, v33
	s_waitcnt lgkmcnt(5)
	global_store_b128 v0, v[17:20], s[6:7]
	s_waitcnt vmcnt(2) lgkmcnt(4)
	global_store_b128 v0, v[21:24], s[6:7] offset:16
	s_waitcnt vmcnt(1) lgkmcnt(0)
	global_store_b128 v0, v[29:32], s[6:7] offset:32
	s_waitcnt vmcnt(0)
	global_store_b128 v0, v[25:28], s[6:7] offset:48
	s_endpgm
	.section	.rodata,"a",@progbits
	.p2align	6, 0x0
	.amdhsa_kernel _Z20warp_exchange_kernelILj32ELj32EN6common25StripedToBlockedShuffleOpEsEvPT2_S3_b
		.amdhsa_group_segment_fixed_size 65536
		.amdhsa_private_segment_fixed_size 80
		.amdhsa_kernarg_size 20
		.amdhsa_user_sgpr_count 15
		.amdhsa_user_sgpr_dispatch_ptr 1
		.amdhsa_user_sgpr_queue_ptr 0
		.amdhsa_user_sgpr_kernarg_segment_ptr 1
		.amdhsa_user_sgpr_dispatch_id 0
		.amdhsa_user_sgpr_private_segment_size 0
		.amdhsa_wavefront_size32 1
		.amdhsa_uses_dynamic_stack 0
		.amdhsa_enable_private_segment 1
		.amdhsa_system_sgpr_workgroup_id_x 1
		.amdhsa_system_sgpr_workgroup_id_y 0
		.amdhsa_system_sgpr_workgroup_id_z 0
		.amdhsa_system_sgpr_workgroup_info 0
		.amdhsa_system_vgpr_workitem_id 2
		.amdhsa_next_free_vgpr 52
		.amdhsa_next_free_sgpr 8
		.amdhsa_reserve_vcc 1
		.amdhsa_float_round_mode_32 0
		.amdhsa_float_round_mode_16_64 0
		.amdhsa_float_denorm_mode_32 3
		.amdhsa_float_denorm_mode_16_64 3
		.amdhsa_dx10_clamp 1
		.amdhsa_ieee_mode 1
		.amdhsa_fp16_overflow 0
		.amdhsa_workgroup_processor_mode 1
		.amdhsa_memory_ordered 1
		.amdhsa_forward_progress 0
		.amdhsa_shared_vgpr_count 0
		.amdhsa_exception_fp_ieee_invalid_op 0
		.amdhsa_exception_fp_denorm_src 0
		.amdhsa_exception_fp_ieee_div_zero 0
		.amdhsa_exception_fp_ieee_overflow 0
		.amdhsa_exception_fp_ieee_underflow 0
		.amdhsa_exception_fp_ieee_inexact 0
		.amdhsa_exception_int_div_zero 0
	.end_amdhsa_kernel
	.section	.text._Z20warp_exchange_kernelILj32ELj32EN6common25StripedToBlockedShuffleOpEsEvPT2_S3_b,"axG",@progbits,_Z20warp_exchange_kernelILj32ELj32EN6common25StripedToBlockedShuffleOpEsEvPT2_S3_b,comdat
.Lfunc_end10:
	.size	_Z20warp_exchange_kernelILj32ELj32EN6common25StripedToBlockedShuffleOpEsEvPT2_S3_b, .Lfunc_end10-_Z20warp_exchange_kernelILj32ELj32EN6common25StripedToBlockedShuffleOpEsEvPT2_S3_b
                                        ; -- End function
	.section	.AMDGPU.csdata,"",@progbits
; Kernel info:
; codeLenInByte = 7356
; NumSgprs: 10
; NumVgprs: 52
; ScratchSize: 80
; MemoryBound: 0
; FloatMode: 240
; IeeeMode: 1
; LDSByteSize: 65536 bytes/workgroup (compile time only)
; SGPRBlocks: 1
; VGPRBlocks: 6
; NumSGPRsForWavesPerEU: 10
; NumVGPRsForWavesPerEU: 52
; Occupancy: 16
; WaveLimiterHint : 0
; COMPUTE_PGM_RSRC2:SCRATCH_EN: 1
; COMPUTE_PGM_RSRC2:USER_SGPR: 15
; COMPUTE_PGM_RSRC2:TRAP_HANDLER: 0
; COMPUTE_PGM_RSRC2:TGID_X_EN: 1
; COMPUTE_PGM_RSRC2:TGID_Y_EN: 0
; COMPUTE_PGM_RSRC2:TGID_Z_EN: 0
; COMPUTE_PGM_RSRC2:TIDIG_COMP_CNT: 2
	.section	.text._Z20warp_exchange_kernelILj16ELj16EN6common25StripedToBlockedShuffleOpEaEvPT2_S3_b,"axG",@progbits,_Z20warp_exchange_kernelILj16ELj16EN6common25StripedToBlockedShuffleOpEaEvPT2_S3_b,comdat
	.protected	_Z20warp_exchange_kernelILj16ELj16EN6common25StripedToBlockedShuffleOpEaEvPT2_S3_b ; -- Begin function _Z20warp_exchange_kernelILj16ELj16EN6common25StripedToBlockedShuffleOpEaEvPT2_S3_b
	.globl	_Z20warp_exchange_kernelILj16ELj16EN6common25StripedToBlockedShuffleOpEaEvPT2_S3_b
	.p2align	8
	.type	_Z20warp_exchange_kernelILj16ELj16EN6common25StripedToBlockedShuffleOpEaEvPT2_S3_b,@function
_Z20warp_exchange_kernelILj16ELj16EN6common25StripedToBlockedShuffleOpEaEvPT2_S3_b: ; @_Z20warp_exchange_kernelILj16ELj16EN6common25StripedToBlockedShuffleOpEaEvPT2_S3_b
; %bb.0:
	s_clause 0x1
	s_load_b128 s[96:99], s[0:1], 0x0
	s_load_b32 s82, s[0:1], 0x10
	v_lshlrev_b32_e32 v8, 4, v0
	v_mbcnt_lo_u32_b32 v9, -1, 0
	s_delay_alu instid0(VALU_DEP_1) | instskip(SKIP_1) | instid1(VALU_DEP_2)
	v_and_b32_e32 v4, 8, v9
	v_and_b32_e32 v10, 4, v9
	v_cmp_eq_u32_e32 vcc_lo, 0, v4
	v_xor_b32_e32 v4, 8, v4
	s_delay_alu instid0(VALU_DEP_3) | instskip(SKIP_1) | instid1(VALU_DEP_3)
	v_cmp_ne_u32_e64 s0, 0, v10
	v_cndmask_b32_e64 v5, 1, 9, vcc_lo
	v_cmp_eq_u32_e64 s68, 1, v4
	s_waitcnt lgkmcnt(0)
	global_load_b128 v[0:3], v8, s[96:97]
	v_cmp_eq_u32_e64 s67, 2, v4
	v_cmp_eq_u32_e64 s69, 3, v4
	;; [unrolled: 1-line block ×24, first 2 shown]
	v_cndmask_b32_e64 v6, 2, 10, vcc_lo
	v_cmp_eq_u32_e64 s76, 10, v4
	v_cmp_eq_u32_e64 s77, 11, v4
	;; [unrolled: 1-line block ×22, first 2 shown]
	v_cndmask_b32_e64 v7, 3, 11, vcc_lo
	v_cndmask_b32_e64 v24, 4, 12, vcc_lo
	v_cmp_eq_u32_e64 s66, 0, v4
	v_cndmask_b32_e64 v13, 5, 13, vcc_lo
	v_cndmask_b32_e64 v12, 6, 14, vcc_lo
	;; [unrolled: 1-line block ×3, first 2 shown]
	v_cmp_eq_u32_e64 s27, 1, v7
	v_cmp_eq_u32_e64 s30, 2, v7
	;; [unrolled: 1-line block ×32, first 2 shown]
	s_bitcmp0_b32 s82, 0
	s_mov_b32 s82, -1
	s_waitcnt vmcnt(0)
	v_lshrrev_b32_e32 v15, 8, v0
	v_lshrrev_b32_e32 v14, 16, v0
	;; [unrolled: 1-line block ×5, first 2 shown]
	v_cndmask_b32_e64 v5, v0, v15, s68
	v_lshrrev_b32_e32 v19, 8, v2
	v_lshrrev_b32_e32 v20, 16, v2
	;; [unrolled: 1-line block ×4, first 2 shown]
	v_cndmask_b32_e64 v5, v5, v14, s67
	v_lshrrev_b32_e32 v22, 16, v3
	v_lshrrev_b32_e32 v23, 24, v3
	s_delay_alu instid0(VALU_DEP_3) | instskip(SKIP_1) | instid1(VALU_DEP_2)
	v_cndmask_b32_e64 v5, v5, v16, s69
	v_lshrrev_b32_e32 v16, 8, v1
	v_cndmask_b32_e64 v5, v5, v1, s70
	s_delay_alu instid0(VALU_DEP_1) | instskip(NEXT) | instid1(VALU_DEP_1)
	v_cndmask_b32_e64 v5, v5, v16, s71
	v_cndmask_b32_e64 v5, v5, v17, s72
	s_delay_alu instid0(VALU_DEP_1) | instskip(NEXT) | instid1(VALU_DEP_1)
	v_cndmask_b32_e64 v5, v5, v18, s73
	;; [unrolled: 3-line block ×6, first 2 shown]
	v_and_b32_e32 v24, 0xff, v4
	s_cbranch_scc0 .LBB11_2
; %bb.1:
	ds_swizzle_b32 v6, v24 offset:swizzle(SWAP,8)
	v_lshrrev_b64 v[4:5], 24, v[0:1]
	v_cmp_eq_u32_e32 vcc_lo, 1, v13
	v_cmp_eq_u32_e64 s82, 2, v13
	v_cmp_eq_u32_e64 s83, 3, v13
	;; [unrolled: 1-line block ×14, first 2 shown]
	s_waitcnt lgkmcnt(0)
	v_cndmask_b32_e64 v7, v15, v6, s68
	v_cndmask_b32_e64 v25, v0, v6, s66
	;; [unrolled: 1-line block ×15, first 2 shown]
	s_delay_alu instid0(VALU_DEP_4) | instskip(NEXT) | instid1(VALU_DEP_1)
	v_cndmask_b32_e64 v4, v4, v27, s33
	v_cndmask_b32_e64 v4, v4, v28, s29
	s_delay_alu instid0(VALU_DEP_1) | instskip(NEXT) | instid1(VALU_DEP_1)
	v_cndmask_b32_e64 v4, v4, v29, s26
	v_cndmask_b32_e64 v4, v4, v30, s25
	s_delay_alu instid0(VALU_DEP_1) | instskip(NEXT) | instid1(VALU_DEP_1)
	v_cndmask_b32_e64 v4, v4, v31, s24
	v_cndmask_b32_e64 v34, v4, v32, s23
	v_lshrrev_b64 v[4:5], 24, v[2:3]
	v_cndmask_b32_e64 v5, v20, v6, s76
	s_delay_alu instid0(VALU_DEP_3) | instskip(NEXT) | instid1(VALU_DEP_3)
	v_cndmask_b32_e64 v34, v34, v33, s22
	v_cndmask_b32_e64 v4, v4, v6, s77
	v_cndmask_b32_e64 v6, v23, v6, s81
	s_delay_alu instid0(VALU_DEP_3) | instskip(NEXT) | instid1(VALU_DEP_1)
	v_cndmask_b32_e64 v34, v34, v5, s21
	v_cndmask_b32_e64 v34, v34, v4, s20
	s_delay_alu instid0(VALU_DEP_1) | instskip(NEXT) | instid1(VALU_DEP_1)
	v_cndmask_b32_e64 v34, v34, v35, s19
	v_cndmask_b32_e64 v34, v34, v36, s18
	s_delay_alu instid0(VALU_DEP_1) | instskip(NEXT) | instid1(VALU_DEP_1)
	v_cndmask_b32_e64 v34, v34, v37, s16
	v_cndmask_b32_e64 v34, v34, v6, s14
	s_delay_alu instid0(VALU_DEP_1)
	v_and_b32_e32 v34, 0xff, v34
	ds_swizzle_b32 v34, v34 offset:swizzle(SWAP,8)
	s_waitcnt lgkmcnt(0)
	v_cndmask_b32_e64 v7, v7, v34, s43
	v_cndmask_b32_e64 v25, v25, v34, s55
	v_cndmask_b32_e64 v26, v26, v34, s38
	v_cndmask_b32_e64 v27, v27, v34, s33
	v_cndmask_b32_e64 v28, v28, v34, s29
	v_cndmask_b32_e64 v29, v29, v34, s26
	v_cndmask_b32_e64 v38, v25, v7, s63
	v_cndmask_b32_e64 v30, v30, v34, s25
	v_cndmask_b32_e64 v31, v31, v34, s24
	v_cndmask_b32_e64 v32, v32, v34, s23
	v_cndmask_b32_e64 v33, v33, v34, s22
	v_cndmask_b32_e64 v38, v38, v26, s62
	v_cndmask_b32_e64 v5, v5, v34, s21
	v_cndmask_b32_e64 v4, v4, v34, s20
	v_cndmask_b32_e64 v35, v35, v34, s19
	v_cndmask_b32_e64 v36, v36, v34, s18
	v_cndmask_b32_e64 v38, v38, v27, s61
	v_cndmask_b32_e64 v37, v37, v34, s16
	v_cndmask_b32_e64 v6, v6, v34, s14
	s_delay_alu instid0(VALU_DEP_3) | instskip(NEXT) | instid1(VALU_DEP_1)
	v_cndmask_b32_e64 v38, v38, v28, s60
	v_cndmask_b32_e64 v38, v38, v29, s59
	s_delay_alu instid0(VALU_DEP_1) | instskip(NEXT) | instid1(VALU_DEP_1)
	v_cndmask_b32_e64 v38, v38, v30, s58
	v_cndmask_b32_e64 v38, v38, v31, s56
	s_delay_alu instid0(VALU_DEP_1) | instskip(NEXT) | instid1(VALU_DEP_1)
	v_cndmask_b32_e64 v38, v38, v32, s53
	v_cndmask_b32_e64 v38, v38, v33, s51
	s_delay_alu instid0(VALU_DEP_1) | instskip(NEXT) | instid1(VALU_DEP_1)
	v_cndmask_b32_e64 v38, v38, v5, s48
	v_cndmask_b32_e64 v38, v38, v4, s49
	s_delay_alu instid0(VALU_DEP_1) | instskip(NEXT) | instid1(VALU_DEP_1)
	v_cndmask_b32_e64 v38, v38, v35, s47
	v_cndmask_b32_e64 v38, v38, v36, s52
	s_delay_alu instid0(VALU_DEP_1) | instskip(NEXT) | instid1(VALU_DEP_1)
	v_cndmask_b32_e64 v34, v38, v37, s50
	v_cndmask_b32_e64 v34, v34, v6, s54
	s_delay_alu instid0(VALU_DEP_1)
	v_and_b32_e32 v34, 0xff, v34
	ds_swizzle_b32 v34, v34 offset:swizzle(SWAP,8)
	s_waitcnt lgkmcnt(0)
	v_cndmask_b32_e64 v7, v7, v34, s63
	v_cndmask_b32_e64 v25, v25, v34, s65
	v_cndmask_b32_e64 v26, v26, v34, s62
	v_cndmask_b32_e64 v27, v27, v34, s61
	v_cndmask_b32_e64 v28, v28, v34, s60
	v_cndmask_b32_e64 v29, v29, v34, s59
	v_cndmask_b32_e64 v38, v25, v7, s27
	v_cndmask_b32_e64 v30, v30, v34, s58
	v_cndmask_b32_e64 v31, v31, v34, s56
	v_cndmask_b32_e64 v32, v32, v34, s53
	v_cndmask_b32_e64 v33, v33, v34, s51
	v_cndmask_b32_e64 v38, v38, v26, s30
	v_cndmask_b32_e64 v5, v5, v34, s48
	v_cndmask_b32_e64 v4, v4, v34, s49
	v_cndmask_b32_e64 v35, v35, v34, s47
	v_cndmask_b32_e64 v36, v36, v34, s52
	v_cndmask_b32_e64 v38, v38, v27, s28
	v_cndmask_b32_e64 v37, v37, v34, s50
	v_cndmask_b32_e64 v6, v6, v34, s54
	s_delay_alu instid0(VALU_DEP_3) | instskip(NEXT) | instid1(VALU_DEP_1)
	v_cndmask_b32_e64 v38, v38, v28, s34
	v_cndmask_b32_e64 v38, v38, v29, s31
	s_delay_alu instid0(VALU_DEP_1) | instskip(NEXT) | instid1(VALU_DEP_1)
	v_cndmask_b32_e64 v38, v38, v30, s39
	v_cndmask_b32_e64 v38, v38, v31, s35
	s_delay_alu instid0(VALU_DEP_1) | instskip(NEXT) | instid1(VALU_DEP_1)
	v_cndmask_b32_e64 v38, v38, v32, s44
	v_cndmask_b32_e64 v38, v38, v33, s40
	s_delay_alu instid0(VALU_DEP_1) | instskip(NEXT) | instid1(VALU_DEP_1)
	v_cndmask_b32_e64 v38, v38, v5, s36
	v_cndmask_b32_e64 v38, v38, v4, s41
	s_delay_alu instid0(VALU_DEP_1) | instskip(NEXT) | instid1(VALU_DEP_1)
	v_cndmask_b32_e64 v38, v38, v35, s37
	v_cndmask_b32_e64 v38, v38, v36, s45
	s_delay_alu instid0(VALU_DEP_1) | instskip(NEXT) | instid1(VALU_DEP_1)
	v_cndmask_b32_e64 v34, v38, v37, s42
	v_cndmask_b32_e64 v34, v34, v6, s46
	s_delay_alu instid0(VALU_DEP_1)
	v_and_b32_e32 v34, 0xff, v34
	ds_swizzle_b32 v34, v34 offset:swizzle(SWAP,8)
	s_waitcnt lgkmcnt(0)
	v_cndmask_b32_e64 v7, v7, v34, s27
	v_cndmask_b32_e64 v25, v25, v34, s64
	v_cndmask_b32_e64 v26, v26, v34, s30
	v_cndmask_b32_e64 v27, v27, v34, s28
	v_cndmask_b32_e64 v28, v28, v34, s34
	v_cndmask_b32_e64 v29, v29, v34, s31
	v_cndmask_b32_e64 v38, v25, v7, s17
	v_cndmask_b32_e64 v30, v30, v34, s39
	v_cndmask_b32_e64 v31, v31, v34, s35
	v_cndmask_b32_e64 v32, v32, v34, s44
	v_cndmask_b32_e64 v33, v33, v34, s40
	v_cndmask_b32_e64 v38, v38, v26, s15
	v_cndmask_b32_e64 v5, v5, v34, s36
	v_cndmask_b32_e64 v4, v4, v34, s41
	v_cndmask_b32_e64 v35, v35, v34, s37
	v_cndmask_b32_e64 v36, v36, v34, s45
	v_cndmask_b32_e64 v38, v38, v27, s12
	v_cndmask_b32_e64 v37, v37, v34, s42
	v_cndmask_b32_e64 v6, v6, v34, s46
	s_delay_alu instid0(VALU_DEP_3) | instskip(NEXT) | instid1(VALU_DEP_1)
	v_cndmask_b32_e64 v38, v38, v28, s13
	v_cndmask_b32_e64 v38, v38, v29, s9
	s_delay_alu instid0(VALU_DEP_1) | instskip(NEXT) | instid1(VALU_DEP_1)
	v_cndmask_b32_e64 v38, v38, v30, s11
	v_cndmask_b32_e64 v38, v38, v31, s7
	s_delay_alu instid0(VALU_DEP_1) | instskip(NEXT) | instid1(VALU_DEP_1)
	v_cndmask_b32_e64 v38, v38, v32, s10
	v_cndmask_b32_e64 v38, v38, v33, s6
	s_delay_alu instid0(VALU_DEP_1) | instskip(NEXT) | instid1(VALU_DEP_1)
	v_cndmask_b32_e64 v38, v38, v5, s8
	v_cndmask_b32_e64 v38, v38, v4, s5
	s_delay_alu instid0(VALU_DEP_1) | instskip(NEXT) | instid1(VALU_DEP_1)
	v_cndmask_b32_e64 v38, v38, v35, s3
	v_cndmask_b32_e64 v38, v38, v36, s4
	s_delay_alu instid0(VALU_DEP_1) | instskip(NEXT) | instid1(VALU_DEP_1)
	v_cndmask_b32_e64 v34, v38, v37, s2
	v_cndmask_b32_e64 v34, v34, v6, s1
	s_delay_alu instid0(VALU_DEP_1)
	v_and_b32_e32 v34, 0xff, v34
	ds_swizzle_b32 v34, v34 offset:swizzle(SWAP,8)
	s_waitcnt lgkmcnt(0)
	v_cndmask_b32_e64 v7, v7, v34, s17
	v_cndmask_b32_e64 v25, v25, v34, s57
	;; [unrolled: 1-line block ×6, first 2 shown]
	v_cndmask_b32_e32 v38, v25, v7, vcc_lo
	v_cndmask_b32_e64 v30, v30, v34, s11
	v_cndmask_b32_e64 v31, v31, v34, s7
	;; [unrolled: 1-line block ×12, first 2 shown]
	s_delay_alu instid0(VALU_DEP_3) | instskip(NEXT) | instid1(VALU_DEP_1)
	v_cndmask_b32_e64 v38, v38, v28, s84
	v_cndmask_b32_e64 v38, v38, v29, s85
	s_delay_alu instid0(VALU_DEP_1) | instskip(NEXT) | instid1(VALU_DEP_1)
	v_cndmask_b32_e64 v38, v38, v30, s86
	v_cndmask_b32_e64 v38, v38, v31, s87
	s_delay_alu instid0(VALU_DEP_1) | instskip(NEXT) | instid1(VALU_DEP_1)
	;; [unrolled: 3-line block ×5, first 2 shown]
	v_cndmask_b32_e64 v34, v38, v37, s94
	v_cndmask_b32_e64 v34, v34, v6, s95
	s_delay_alu instid0(VALU_DEP_1)
	v_and_b32_e32 v34, 0xff, v34
	ds_swizzle_b32 v34, v34 offset:swizzle(SWAP,8)
	s_waitcnt lgkmcnt(0)
	v_cndmask_b32_e32 v7, v7, v34, vcc_lo
	v_cmp_eq_u32_e32 vcc_lo, 0, v13
	v_cndmask_b32_e64 v26, v26, v34, s82
	v_cmp_eq_u32_e64 s82, 2, v12
	v_cndmask_b32_e64 v27, v27, v34, s83
	v_cmp_eq_u32_e64 s83, 3, v12
	v_cndmask_b32_e32 v25, v25, v34, vcc_lo
	v_cmp_eq_u32_e32 vcc_lo, 1, v12
	v_cndmask_b32_e64 v28, v28, v34, s84
	v_cmp_eq_u32_e64 s84, 4, v12
	v_cndmask_b32_e64 v29, v29, v34, s85
	v_cmp_eq_u32_e64 s85, 5, v12
	v_cndmask_b32_e32 v38, v25, v7, vcc_lo
	v_cndmask_b32_e64 v30, v30, v34, s86
	v_cmp_eq_u32_e64 s86, 6, v12
	v_cndmask_b32_e64 v31, v31, v34, s87
	v_cmp_eq_u32_e64 s87, 7, v12
	v_cndmask_b32_e64 v38, v38, v26, s82
	v_cndmask_b32_e64 v32, v32, v34, s88
	v_cmp_eq_u32_e64 s88, 8, v12
	v_cndmask_b32_e64 v33, v33, v34, s89
	v_cmp_eq_u32_e64 s89, 9, v12
	v_cndmask_b32_e64 v38, v38, v27, s83
	;; [unrolled: 5-line block ×5, first 2 shown]
	s_delay_alu instid0(VALU_DEP_1) | instskip(NEXT) | instid1(VALU_DEP_1)
	v_cndmask_b32_e64 v38, v38, v31, s87
	v_cndmask_b32_e64 v38, v38, v32, s88
	s_delay_alu instid0(VALU_DEP_1) | instskip(NEXT) | instid1(VALU_DEP_1)
	v_cndmask_b32_e64 v38, v38, v33, s89
	v_cndmask_b32_e64 v38, v38, v5, s90
	;; [unrolled: 3-line block ×4, first 2 shown]
	s_delay_alu instid0(VALU_DEP_1) | instskip(NEXT) | instid1(VALU_DEP_1)
	v_cndmask_b32_e64 v34, v34, v6, s95
	v_and_b32_e32 v34, 0xff, v34
	ds_swizzle_b32 v34, v34 offset:swizzle(SWAP,8)
	s_waitcnt lgkmcnt(0)
	v_cndmask_b32_e32 v7, v7, v34, vcc_lo
	v_cmp_eq_u32_e32 vcc_lo, 0, v12
	v_cndmask_b32_e64 v26, v26, v34, s82
	v_cmp_eq_u32_e64 s82, 2, v11
	v_cndmask_b32_e64 v27, v27, v34, s83
	v_cmp_eq_u32_e64 s83, 3, v11
	v_cndmask_b32_e32 v25, v25, v34, vcc_lo
	v_cmp_eq_u32_e32 vcc_lo, 1, v11
	v_cndmask_b32_e64 v28, v28, v34, s84
	v_cmp_eq_u32_e64 s84, 4, v11
	v_cndmask_b32_e64 v29, v29, v34, s85
	v_cmp_eq_u32_e64 s85, 5, v11
	v_cndmask_b32_e32 v38, v25, v7, vcc_lo
	v_cndmask_b32_e64 v30, v30, v34, s86
	v_cmp_eq_u32_e64 s86, 6, v11
	v_cndmask_b32_e64 v31, v31, v34, s87
	v_cmp_eq_u32_e64 s87, 7, v11
	v_cndmask_b32_e64 v38, v38, v26, s82
	v_cndmask_b32_e64 v32, v32, v34, s88
	v_cmp_eq_u32_e64 s88, 8, v11
	v_cndmask_b32_e64 v33, v33, v34, s89
	v_cmp_eq_u32_e64 s89, 9, v11
	v_cndmask_b32_e64 v38, v38, v27, s83
	;; [unrolled: 5-line block ×5, first 2 shown]
	s_delay_alu instid0(VALU_DEP_1) | instskip(NEXT) | instid1(VALU_DEP_1)
	v_cndmask_b32_e64 v38, v38, v31, s87
	v_cndmask_b32_e64 v38, v38, v32, s88
	s_delay_alu instid0(VALU_DEP_1) | instskip(NEXT) | instid1(VALU_DEP_1)
	v_cndmask_b32_e64 v38, v38, v33, s89
	v_cndmask_b32_e64 v38, v38, v5, s90
	s_delay_alu instid0(VALU_DEP_1) | instskip(NEXT) | instid1(VALU_DEP_1)
	v_cndmask_b32_e64 v38, v38, v4, s91
	v_cndmask_b32_e64 v38, v38, v35, s92
	s_delay_alu instid0(VALU_DEP_1) | instskip(NEXT) | instid1(VALU_DEP_1)
	v_cndmask_b32_e64 v38, v38, v36, s93
	v_cndmask_b32_e64 v34, v38, v37, s94
	v_xor_b32_e32 v38, 4, v10
	s_delay_alu instid0(VALU_DEP_2) | instskip(NEXT) | instid1(VALU_DEP_1)
	v_cndmask_b32_e64 v34, v34, v6, s95
	v_and_b32_e32 v34, 0xff, v34
	ds_swizzle_b32 v34, v34 offset:swizzle(SWAP,8)
	s_waitcnt lgkmcnt(0)
	v_cndmask_b32_e32 v7, v7, v34, vcc_lo
	v_cmp_eq_u32_e32 vcc_lo, 0, v11
	v_cndmask_b32_e64 v26, v26, v34, s82
	v_cmp_eq_u32_e64 s82, 2, v38
	v_cndmask_b32_e64 v27, v27, v34, s83
	v_cmp_eq_u32_e64 s83, 3, v38
	v_cndmask_b32_e32 v25, v25, v34, vcc_lo
	v_cmp_eq_u32_e32 vcc_lo, 1, v38
	v_cndmask_b32_e64 v28, v28, v34, s84
	v_cmp_eq_u32_e64 s84, 4, v38
	v_cndmask_b32_e64 v29, v29, v34, s85
	v_cmp_eq_u32_e64 s85, 5, v38
	v_cndmask_b32_e32 v39, v25, v7, vcc_lo
	v_cndmask_b32_e64 v30, v30, v34, s86
	v_cmp_eq_u32_e64 s86, 6, v38
	v_cndmask_b32_e64 v31, v31, v34, s87
	v_cmp_eq_u32_e64 s87, 7, v38
	v_cndmask_b32_e64 v39, v39, v26, s82
	v_cndmask_b32_e64 v32, v32, v34, s88
	v_cmp_eq_u32_e64 s88, 8, v38
	v_cndmask_b32_e64 v33, v33, v34, s89
	v_cmp_eq_u32_e64 s89, 9, v38
	v_cndmask_b32_e64 v39, v39, v27, s83
	;; [unrolled: 5-line block ×5, first 2 shown]
	s_delay_alu instid0(VALU_DEP_1) | instskip(NEXT) | instid1(VALU_DEP_1)
	v_cndmask_b32_e64 v39, v39, v31, s87
	v_cndmask_b32_e64 v39, v39, v32, s88
	s_delay_alu instid0(VALU_DEP_1) | instskip(NEXT) | instid1(VALU_DEP_1)
	v_cndmask_b32_e64 v39, v39, v33, s89
	v_cndmask_b32_e64 v39, v39, v5, s90
	s_delay_alu instid0(VALU_DEP_1) | instskip(NEXT) | instid1(VALU_DEP_1)
	v_cndmask_b32_e64 v39, v39, v4, s91
	v_cndmask_b32_e64 v39, v39, v35, s92
	s_delay_alu instid0(VALU_DEP_1) | instskip(NEXT) | instid1(VALU_DEP_1)
	v_cndmask_b32_e64 v39, v39, v36, s93
	v_cndmask_b32_e64 v34, v39, v37, s94
	s_delay_alu instid0(VALU_DEP_1) | instskip(NEXT) | instid1(VALU_DEP_1)
	v_cndmask_b32_e64 v34, v34, v6, s95
	v_and_b32_e32 v34, 0xff, v34
	ds_swizzle_b32 v34, v34 offset:swizzle(SWAP,4)
	s_waitcnt lgkmcnt(0)
	v_cndmask_b32_e32 v7, v7, v34, vcc_lo
	v_cmp_eq_u32_e32 vcc_lo, 0, v38
	v_cndmask_b32_e64 v26, v26, v34, s82
	v_cndmask_b32_e64 v27, v27, v34, s83
	;; [unrolled: 1-line block ×4, first 2 shown]
	v_cndmask_b32_e32 v25, v25, v34, vcc_lo
	v_cmp_eq_u32_e32 vcc_lo, 0, v10
	v_cndmask_b32_e64 v30, v30, v34, s86
	v_cndmask_b32_e64 v31, v31, v34, s87
	;; [unrolled: 1-line block ×4, first 2 shown]
	v_cndmask_b32_e64 v38, 1, 5, vcc_lo
	v_cndmask_b32_e64 v33, v33, v34, s89
	v_cndmask_b32_e64 v5, v5, v34, s90
	;; [unrolled: 1-line block ×4, first 2 shown]
	v_cmp_eq_u32_e64 s82, 2, v38
	v_cmp_eq_u32_e64 s83, 3, v38
	;; [unrolled: 1-line block ×5, first 2 shown]
	v_cndmask_b32_e64 v39, v39, v26, s82
	v_cmp_eq_u32_e64 s87, 8, v38
	v_cmp_eq_u32_e64 s88, 9, v38
	v_cmp_eq_u32_e64 s89, 10, v38
	v_cmp_eq_u32_e64 s90, 11, v38
	v_cndmask_b32_e64 v39, v39, v27, s83
	v_cmp_eq_u32_e64 s91, 12, v38
	v_cndmask_b32_e64 v36, v36, v34, s93
	v_cmp_eq_u32_e64 s92, 13, v38
	v_cndmask_b32_e64 v37, v37, v34, s94
	v_cndmask_b32_e64 v39, v39, v28, s84
	v_cmp_eq_u32_e64 s93, 14, v38
	v_cndmask_b32_e64 v6, v6, v34, s95
	v_cmp_eq_u32_e64 s94, 15, v38
	v_cmp_eq_u32_e64 s95, 0, v38
	v_cndmask_b32_e32 v39, v39, v29, vcc_lo
	s_delay_alu instid0(VALU_DEP_1) | instskip(NEXT) | instid1(VALU_DEP_1)
	v_cndmask_b32_e64 v39, v39, v30, s85
	v_cndmask_b32_e64 v39, v39, v31, s86
	s_delay_alu instid0(VALU_DEP_1) | instskip(NEXT) | instid1(VALU_DEP_1)
	v_cndmask_b32_e64 v39, v39, v32, s87
	v_cndmask_b32_e64 v39, v39, v33, s88
	;; [unrolled: 3-line block ×4, first 2 shown]
	s_delay_alu instid0(VALU_DEP_1) | instskip(SKIP_1) | instid1(VALU_DEP_2)
	v_cndmask_b32_e64 v34, v39, v37, s93
	v_cndmask_b32_e64 v39, 2, 6, vcc_lo
	v_cndmask_b32_e64 v34, v34, v6, s94
	s_delay_alu instid0(VALU_DEP_1)
	v_and_b32_e32 v34, 0xff, v34
	ds_swizzle_b32 v34, v34 offset:swizzle(SWAP,4)
	s_waitcnt lgkmcnt(0)
	v_cndmask_b32_e64 v7, v7, v34, s0
	v_cndmask_b32_e64 v25, v25, v34, s95
	;; [unrolled: 1-line block ×3, first 2 shown]
	v_cmp_eq_u32_e64 s82, 1, v39
	v_cndmask_b32_e64 v27, v27, v34, s83
	v_cmp_eq_u32_e64 s83, 3, v39
	v_cndmask_b32_e64 v28, v28, v34, s84
	;; [unrolled: 2-line block ×3, first 2 shown]
	v_cndmask_b32_e32 v29, v29, v34, vcc_lo
	v_cndmask_b32_e64 v30, v30, v34, s85
	v_cmp_eq_u32_e64 s85, 5, v39
	v_cndmask_b32_e64 v31, v31, v34, s86
	v_cndmask_b32_e64 v38, v38, v26, s0
	v_cmp_eq_u32_e64 s86, 7, v39
	v_cndmask_b32_e64 v32, v32, v34, s87
	v_cmp_eq_u32_e64 s87, 8, v39
	v_cndmask_b32_e64 v33, v33, v34, s88
	v_cndmask_b32_e64 v38, v38, v27, s83
	v_cmp_eq_u32_e64 s88, 9, v39
	;; [unrolled: 5-line block ×4, first 2 shown]
	v_cndmask_b32_e64 v37, v37, v34, s93
	v_cmp_eq_u32_e64 s93, 14, v39
	v_cndmask_b32_e64 v6, v6, v34, s94
	v_cndmask_b32_e32 v38, v38, v30, vcc_lo
	v_cmp_eq_u32_e64 s94, 15, v39
	s_delay_alu instid0(VALU_DEP_2) | instskip(NEXT) | instid1(VALU_DEP_1)
	v_cndmask_b32_e64 v38, v38, v31, s86
	v_cndmask_b32_e64 v38, v38, v32, s87
	s_delay_alu instid0(VALU_DEP_1) | instskip(NEXT) | instid1(VALU_DEP_1)
	v_cndmask_b32_e64 v38, v38, v33, s88
	v_cndmask_b32_e64 v38, v38, v5, s89
	s_delay_alu instid0(VALU_DEP_1) | instskip(NEXT) | instid1(VALU_DEP_1)
	v_cndmask_b32_e64 v38, v38, v4, s90
	v_cndmask_b32_e64 v38, v38, v35, s91
	s_delay_alu instid0(VALU_DEP_1) | instskip(NEXT) | instid1(VALU_DEP_1)
	v_cndmask_b32_e64 v38, v38, v36, s92
	v_cndmask_b32_e64 v34, v38, v37, s93
	v_cndmask_b32_e64 v38, 3, 7, vcc_lo
	s_delay_alu instid0(VALU_DEP_2) | instskip(NEXT) | instid1(VALU_DEP_1)
	v_cndmask_b32_e64 v34, v34, v6, s94
	v_and_b32_e32 v34, 0xff, v34
	ds_swizzle_b32 v34, v34 offset:swizzle(SWAP,4)
	s_waitcnt lgkmcnt(0)
	v_cndmask_b32_e64 v7, v7, v34, s82
	v_cmp_eq_u32_e64 s82, 0, v39
	v_cndmask_b32_e64 v26, v26, v34, s0
	v_cndmask_b32_e64 v27, v27, v34, s83
	v_cmp_eq_u32_e64 s83, 2, v38
	v_cndmask_b32_e64 v28, v28, v34, s84
	v_cndmask_b32_e64 v25, v25, v34, s82
	v_cmp_eq_u32_e64 s82, 1, v38
	v_cmp_eq_u32_e64 s84, 4, v38
	v_cndmask_b32_e64 v29, v29, v34, s85
	v_cmp_eq_u32_e64 s85, 5, v38
	v_cndmask_b32_e32 v30, v30, v34, vcc_lo
	v_cndmask_b32_e64 v39, v25, v7, s82
	v_cndmask_b32_e64 v31, v31, v34, s86
	v_cmp_eq_u32_e64 s86, 6, v38
	v_cndmask_b32_e64 v32, v32, v34, s87
	v_cmp_eq_u32_e64 s87, 8, v38
	v_cndmask_b32_e64 v39, v39, v26, s83
	v_cndmask_b32_e64 v33, v33, v34, s88
	v_cmp_eq_u32_e64 s88, 9, v38
	v_cndmask_b32_e64 v5, v5, v34, s89
	v_cmp_eq_u32_e64 s89, 10, v38
	;; [unrolled: 5-line block ×4, first 2 shown]
	v_cndmask_b32_e64 v39, v39, v29, s85
	v_cndmask_b32_e64 v6, v6, v34, s94
	v_cmp_eq_u32_e64 s94, 15, v38
	s_delay_alu instid0(VALU_DEP_3) | instskip(NEXT) | instid1(VALU_DEP_1)
	v_cndmask_b32_e64 v39, v39, v30, s86
	v_cndmask_b32_e32 v39, v39, v31, vcc_lo
	s_delay_alu instid0(VALU_DEP_1) | instskip(NEXT) | instid1(VALU_DEP_1)
	v_cndmask_b32_e64 v39, v39, v32, s87
	v_cndmask_b32_e64 v39, v39, v33, s88
	s_delay_alu instid0(VALU_DEP_1) | instskip(NEXT) | instid1(VALU_DEP_1)
	v_cndmask_b32_e64 v39, v39, v5, s89
	v_cndmask_b32_e64 v39, v39, v4, s90
	s_delay_alu instid0(VALU_DEP_1) | instskip(NEXT) | instid1(VALU_DEP_1)
	v_cndmask_b32_e64 v39, v39, v35, s91
	v_cndmask_b32_e64 v39, v39, v36, s92
	s_delay_alu instid0(VALU_DEP_1) | instskip(SKIP_1) | instid1(VALU_DEP_2)
	v_cndmask_b32_e64 v34, v39, v37, s93
	v_cndmask_b32_e64 v39, 8, 12, vcc_lo
	v_cndmask_b32_e64 v34, v34, v6, s94
	s_delay_alu instid0(VALU_DEP_2) | instskip(NEXT) | instid1(VALU_DEP_2)
	v_cmp_eq_u32_e64 s95, 6, v39
	v_and_b32_e32 v34, 0xff, v34
	ds_swizzle_b32 v34, v34 offset:swizzle(SWAP,4)
	s_waitcnt lgkmcnt(0)
	v_cndmask_b32_e64 v7, v7, v34, s82
	v_cmp_eq_u32_e64 s82, 0, v38
	v_cndmask_b32_e64 v26, v26, v34, s83
	v_cmp_eq_u32_e64 s83, 2, v39
	v_cndmask_b32_e64 v27, v27, v34, s0
	v_cndmask_b32_e64 v28, v28, v34, s84
	;; [unrolled: 1-line block ×3, first 2 shown]
	v_cmp_eq_u32_e64 s82, 1, v39
	v_cmp_eq_u32_e64 s84, 3, v39
	v_cndmask_b32_e64 v29, v29, v34, s85
	v_cmp_eq_u32_e64 s85, 4, v39
	v_cndmask_b32_e64 v30, v30, v34, s86
	v_cndmask_b32_e64 v38, v25, v7, s82
	v_cmp_eq_u32_e64 s86, 5, v39
	v_cndmask_b32_e32 v31, v31, v34, vcc_lo
	v_cndmask_b32_e64 v32, v32, v34, s87
	v_cmp_eq_u32_e64 s87, 7, v39
	v_cndmask_b32_e64 v38, v38, v26, s83
	v_cndmask_b32_e64 v33, v33, v34, s88
	v_cmp_eq_u32_e64 s88, 9, v39
	v_cndmask_b32_e64 v5, v5, v34, s89
	v_cmp_eq_u32_e64 s89, 10, v39
	v_cndmask_b32_e64 v38, v38, v27, s84
	v_cndmask_b32_e64 v4, v4, v34, s90
	v_cmp_eq_u32_e64 s90, 11, v39
	v_cndmask_b32_e64 v35, v35, v34, s91
	v_cndmask_b32_e64 v36, v36, v34, s92
	;; [unrolled: 1-line block ×3, first 2 shown]
	v_cmp_eq_u32_e64 s91, 13, v39
	v_cndmask_b32_e64 v37, v37, v34, s93
	v_cmp_eq_u32_e64 s92, 14, v39
	v_cndmask_b32_e64 v6, v6, v34, s94
	v_cndmask_b32_e64 v38, v38, v29, s86
	v_cmp_eq_u32_e64 s93, 15, v39
	s_delay_alu instid0(VALU_DEP_2) | instskip(NEXT) | instid1(VALU_DEP_1)
	v_cndmask_b32_e64 v38, v38, v30, s95
	v_cndmask_b32_e64 v38, v38, v31, s87
	s_delay_alu instid0(VALU_DEP_1) | instskip(NEXT) | instid1(VALU_DEP_1)
	v_cndmask_b32_e64 v38, v38, v32, s0
	v_cndmask_b32_e64 v38, v38, v33, s88
	s_delay_alu instid0(VALU_DEP_1) | instskip(NEXT) | instid1(VALU_DEP_1)
	;; [unrolled: 3-line block ×3, first 2 shown]
	v_cndmask_b32_e32 v38, v38, v35, vcc_lo
	v_cndmask_b32_e64 v38, v38, v36, s91
	s_delay_alu instid0(VALU_DEP_1) | instskip(SKIP_1) | instid1(VALU_DEP_2)
	v_cndmask_b32_e64 v34, v38, v37, s92
	v_cndmask_b32_e64 v38, 9, 13, vcc_lo
	v_cndmask_b32_e64 v34, v34, v6, s93
	s_delay_alu instid0(VALU_DEP_2) | instskip(NEXT) | instid1(VALU_DEP_2)
	v_cmp_eq_u32_e64 s94, 7, v38
	v_and_b32_e32 v34, 0xff, v34
	ds_swizzle_b32 v34, v34 offset:swizzle(SWAP,4)
	s_waitcnt lgkmcnt(0)
	v_cndmask_b32_e64 v7, v7, v34, s82
	v_cmp_eq_u32_e64 s82, 0, v39
	v_cndmask_b32_e64 v26, v26, v34, s83
	v_cmp_eq_u32_e64 s83, 2, v38
	;; [unrolled: 2-line block ×6, first 2 shown]
	v_cndmask_b32_e64 v39, v25, v7, s82
	v_cndmask_b32_e64 v30, v30, v34, s95
	;; [unrolled: 1-line block ×3, first 2 shown]
	v_cmp_eq_u32_e64 s87, 6, v38
	v_cndmask_b32_e64 v32, v32, v34, s0
	v_cndmask_b32_e64 v39, v39, v26, s83
	;; [unrolled: 1-line block ×3, first 2 shown]
	v_cmp_eq_u32_e64 s88, 8, v38
	v_cndmask_b32_e64 v5, v5, v34, s89
	v_cmp_eq_u32_e64 s89, 10, v38
	v_cndmask_b32_e64 v39, v39, v27, s84
	v_cndmask_b32_e64 v4, v4, v34, s90
	v_cmp_eq_u32_e64 s90, 11, v38
	v_cndmask_b32_e32 v35, v35, v34, vcc_lo
	v_cndmask_b32_e64 v36, v36, v34, s91
	v_cndmask_b32_e64 v39, v39, v28, s85
	v_cmp_eq_u32_e64 s91, 12, v38
	v_cndmask_b32_e64 v37, v37, v34, s92
	v_cmp_eq_u32_e64 s92, 14, v38
	v_cndmask_b32_e64 v6, v6, v34, s93
	v_cndmask_b32_e64 v39, v39, v29, s86
	v_cmp_eq_u32_e64 s93, 15, v38
	s_delay_alu instid0(VALU_DEP_2) | instskip(NEXT) | instid1(VALU_DEP_1)
	v_cndmask_b32_e64 v39, v39, v30, s87
	v_cndmask_b32_e64 v39, v39, v31, s94
	s_delay_alu instid0(VALU_DEP_1) | instskip(NEXT) | instid1(VALU_DEP_1)
	v_cndmask_b32_e64 v39, v39, v32, s88
	v_cndmask_b32_e64 v39, v39, v33, s0
	s_delay_alu instid0(VALU_DEP_1) | instskip(NEXT) | instid1(VALU_DEP_1)
	;; [unrolled: 3-line block ×3, first 2 shown]
	v_cndmask_b32_e64 v39, v39, v35, s91
	v_cndmask_b32_e32 v39, v39, v36, vcc_lo
	s_delay_alu instid0(VALU_DEP_1) | instskip(SKIP_1) | instid1(VALU_DEP_2)
	v_cndmask_b32_e64 v34, v39, v37, s92
	v_cndmask_b32_e64 v39, 10, 14, vcc_lo
	v_cndmask_b32_e64 v34, v34, v6, s93
	s_delay_alu instid0(VALU_DEP_1)
	v_and_b32_e32 v34, 0xff, v34
	ds_swizzle_b32 v34, v34 offset:swizzle(SWAP,4)
	s_waitcnt lgkmcnt(0)
	v_cndmask_b32_e64 v7, v7, v34, s82
	v_cmp_eq_u32_e64 s82, 0, v38
	v_cndmask_b32_e64 v26, v26, v34, s83
	v_cmp_eq_u32_e64 s83, 2, v39
	;; [unrolled: 2-line block ×6, first 2 shown]
	v_cndmask_b32_e64 v38, v25, v7, s82
	v_cndmask_b32_e64 v30, v30, v34, s87
	v_cmp_eq_u32_e64 s87, 6, v39
	v_cndmask_b32_e64 v31, v31, v34, s94
	v_cndmask_b32_e64 v32, v32, v34, s88
	;; [unrolled: 1-line block ×3, first 2 shown]
	v_cmp_eq_u32_e64 s88, 7, v39
	v_cmp_eq_u32_e64 s94, 8, v39
	v_cndmask_b32_e64 v33, v33, v34, s0
	v_cndmask_b32_e64 v5, v5, v34, s89
	;; [unrolled: 1-line block ×3, first 2 shown]
	v_cmp_eq_u32_e64 s89, 9, v39
	v_cndmask_b32_e64 v4, v4, v34, s90
	v_cmp_eq_u32_e64 s90, 11, v39
	v_cndmask_b32_e64 v35, v35, v34, s91
	v_cndmask_b32_e64 v38, v38, v28, s85
	v_cmp_eq_u32_e64 s91, 12, v39
	v_cndmask_b32_e32 v36, v36, v34, vcc_lo
	v_cndmask_b32_e64 v37, v37, v34, s92
	v_cmp_eq_u32_e64 s92, 13, v39
	v_cndmask_b32_e64 v38, v38, v29, s86
	v_cndmask_b32_e64 v6, v6, v34, s93
	v_cmp_eq_u32_e64 s93, 15, v39
	s_delay_alu instid0(VALU_DEP_3) | instskip(NEXT) | instid1(VALU_DEP_1)
	v_cndmask_b32_e64 v38, v38, v30, s87
	v_cndmask_b32_e64 v38, v38, v31, s88
	s_delay_alu instid0(VALU_DEP_1) | instskip(NEXT) | instid1(VALU_DEP_1)
	v_cndmask_b32_e64 v38, v38, v32, s94
	v_cndmask_b32_e64 v38, v38, v33, s89
	s_delay_alu instid0(VALU_DEP_1) | instskip(NEXT) | instid1(VALU_DEP_1)
	;; [unrolled: 3-line block ×3, first 2 shown]
	v_cndmask_b32_e64 v38, v38, v35, s91
	v_cndmask_b32_e64 v38, v38, v36, s92
	s_delay_alu instid0(VALU_DEP_1) | instskip(SKIP_1) | instid1(VALU_DEP_2)
	v_cndmask_b32_e32 v34, v38, v37, vcc_lo
	v_cndmask_b32_e64 v38, 11, 15, vcc_lo
	v_cndmask_b32_e64 v34, v34, v6, s93
	s_delay_alu instid0(VALU_DEP_1)
	v_and_b32_e32 v34, 0xff, v34
	ds_swizzle_b32 v34, v34 offset:swizzle(SWAP,4)
	s_waitcnt lgkmcnt(0)
	v_cndmask_b32_e64 v7, v7, v34, s82
	v_cmp_eq_u32_e64 s82, 0, v39
	v_cndmask_b32_e64 v26, v26, v34, s83
	v_cmp_eq_u32_e64 s83, 2, v38
	;; [unrolled: 2-line block ×6, first 2 shown]
	v_cndmask_b32_e64 v39, v25, v7, s82
	v_cndmask_b32_e64 v30, v30, v34, s87
	v_cmp_eq_u32_e64 s87, 6, v38
	v_cndmask_b32_e64 v31, v31, v34, s88
	v_cmp_eq_u32_e64 s88, 7, v38
	v_cndmask_b32_e64 v39, v39, v26, s83
	v_cndmask_b32_e64 v32, v32, v34, s94
	;; [unrolled: 1-line block ×3, first 2 shown]
	v_cmp_eq_u32_e64 s89, 8, v38
	v_cmp_eq_u32_e64 s94, 9, v38
	v_cndmask_b32_e64 v39, v39, v27, s84
	v_cndmask_b32_e64 v5, v5, v34, s0
	v_cndmask_b32_e64 v4, v4, v34, s90
	v_cmp_eq_u32_e64 s90, 10, v38
	v_cndmask_b32_e64 v35, v35, v34, s91
	v_cndmask_b32_e64 v39, v39, v28, s85
	v_cmp_eq_u32_e64 s91, 12, v38
	v_cndmask_b32_e64 v36, v36, v34, s92
	v_cmp_eq_u32_e64 s92, 13, v38
	v_cndmask_b32_e32 v37, v37, v34, vcc_lo
	v_cndmask_b32_e64 v39, v39, v29, s86
	v_cndmask_b32_e64 v6, v6, v34, s93
	v_cmp_eq_u32_e64 s93, 14, v38
	s_delay_alu instid0(VALU_DEP_3) | instskip(NEXT) | instid1(VALU_DEP_1)
	v_cndmask_b32_e64 v39, v39, v30, s87
	v_cndmask_b32_e64 v39, v39, v31, s88
	s_delay_alu instid0(VALU_DEP_1) | instskip(NEXT) | instid1(VALU_DEP_1)
	v_cndmask_b32_e64 v39, v39, v32, s89
	v_cndmask_b32_e64 v39, v39, v33, s94
	s_delay_alu instid0(VALU_DEP_1) | instskip(NEXT) | instid1(VALU_DEP_1)
	;; [unrolled: 3-line block ×4, first 2 shown]
	v_cndmask_b32_e64 v34, v39, v37, s93
	v_dual_cndmask_b32 v34, v34, v6 :: v_dual_and_b32 v39, 2, v9
	s_delay_alu instid0(VALU_DEP_1) | instskip(NEXT) | instid1(VALU_DEP_2)
	v_xor_b32_e32 v40, 2, v39
	v_and_b32_e32 v34, 0xff, v34
	s_delay_alu instid0(VALU_DEP_2)
	v_cmp_eq_u32_e64 s95, 15, v40
	ds_swizzle_b32 v34, v34 offset:swizzle(SWAP,4)
	s_waitcnt lgkmcnt(0)
	v_cndmask_b32_e64 v7, v7, v34, s82
	v_cmp_eq_u32_e64 s82, 0, v38
	v_cndmask_b32_e64 v26, v26, v34, s83
	v_cmp_eq_u32_e64 s83, 2, v40
	;; [unrolled: 2-line block ×6, first 2 shown]
	v_cndmask_b32_e64 v38, v25, v7, s82
	v_cndmask_b32_e64 v30, v30, v34, s87
	v_cmp_eq_u32_e64 s87, 6, v40
	v_cndmask_b32_e64 v31, v31, v34, s88
	v_cmp_eq_u32_e64 s88, 7, v40
	v_cndmask_b32_e64 v38, v38, v26, s83
	v_cndmask_b32_e64 v32, v32, v34, s89
	v_cmp_eq_u32_e64 s89, 8, v40
	v_cndmask_b32_e64 v33, v33, v34, s94
	v_cndmask_b32_e64 v5, v5, v34, s90
	;; [unrolled: 1-line block ×3, first 2 shown]
	v_cmp_eq_u32_e64 s90, 9, v40
	v_cmp_eq_u32_e64 s94, 10, v40
	v_cndmask_b32_e64 v4, v4, v34, s0
	v_cndmask_b32_e64 v35, v35, v34, s91
	;; [unrolled: 1-line block ×3, first 2 shown]
	v_cmp_eq_u32_e64 s91, 11, v40
	v_cndmask_b32_e64 v36, v36, v34, s92
	v_cmp_eq_u32_e64 s92, 12, v40
	v_cndmask_b32_e64 v37, v37, v34, s93
	v_cndmask_b32_e64 v38, v38, v29, s86
	v_cmp_eq_u32_e64 s93, 13, v40
	v_cndmask_b32_e32 v6, v6, v34, vcc_lo
	v_cmp_eq_u32_e32 vcc_lo, 14, v40
	s_delay_alu instid0(VALU_DEP_4) | instskip(NEXT) | instid1(VALU_DEP_1)
	v_cndmask_b32_e64 v38, v38, v30, s87
	v_cndmask_b32_e64 v38, v38, v31, s88
	s_delay_alu instid0(VALU_DEP_1) | instskip(NEXT) | instid1(VALU_DEP_1)
	v_cndmask_b32_e64 v38, v38, v32, s89
	v_cndmask_b32_e64 v38, v38, v33, s90
	s_delay_alu instid0(VALU_DEP_1) | instskip(NEXT) | instid1(VALU_DEP_1)
	;; [unrolled: 3-line block ×4, first 2 shown]
	v_cndmask_b32_e32 v34, v38, v37, vcc_lo
	v_cndmask_b32_e64 v34, v34, v6, s95
	s_delay_alu instid0(VALU_DEP_1)
	v_and_b32_e32 v34, 0xff, v34
	ds_swizzle_b32 v34, v34 offset:swizzle(SWAP,2)
	s_waitcnt lgkmcnt(0)
	v_cndmask_b32_e64 v7, v7, v34, s82
	v_cmp_eq_u32_e64 s82, 0, v40
	v_cndmask_b32_e64 v26, v26, v34, s83
	v_cmp_ne_u32_e64 s83, 0, v39
	v_cndmask_b32_e64 v27, v27, v34, s84
	v_cndmask_b32_e64 v28, v28, v34, s85
	;; [unrolled: 1-line block ×3, first 2 shown]
	v_cmp_eq_u32_e64 s82, 0, v39
	v_cndmask_b32_e64 v29, v29, v34, s86
	v_cndmask_b32_e64 v30, v30, v34, s87
	;; [unrolled: 1-line block ×9, first 2 shown]
	v_cmp_eq_u32_e64 s84, 2, v38
	v_cmp_eq_u32_e64 s85, 4, v38
	;; [unrolled: 1-line block ×5, first 2 shown]
	v_cndmask_b32_e64 v39, v39, v26, s84
	v_cmp_eq_u32_e64 s89, 8, v38
	v_cmp_eq_u32_e64 s90, 9, v38
	;; [unrolled: 1-line block ×3, first 2 shown]
	v_cndmask_b32_e64 v35, v35, v34, s92
	v_cndmask_b32_e64 v39, v39, v27, s82
	v_cmp_eq_u32_e64 s92, 11, v38
	v_cndmask_b32_e64 v36, v36, v34, s93
	v_cmp_eq_u32_e64 s93, 12, v38
	v_cndmask_b32_e32 v37, v37, v34, vcc_lo
	v_cndmask_b32_e64 v39, v39, v28, s85
	v_cmp_eq_u32_e32 vcc_lo, 13, v38
	v_cmp_eq_u32_e64 s94, 14, v38
	v_cndmask_b32_e64 v6, v6, v34, s95
	v_cmp_eq_u32_e64 s95, 15, v38
	v_cndmask_b32_e64 v39, v39, v29, s86
	v_cmp_eq_u32_e64 s96, 0, v38
	s_delay_alu instid0(VALU_DEP_2) | instskip(NEXT) | instid1(VALU_DEP_1)
	v_cndmask_b32_e64 v39, v39, v30, s87
	v_cndmask_b32_e64 v39, v39, v31, s88
	s_delay_alu instid0(VALU_DEP_1) | instskip(NEXT) | instid1(VALU_DEP_1)
	v_cndmask_b32_e64 v39, v39, v32, s89
	v_cndmask_b32_e64 v39, v39, v33, s90
	s_delay_alu instid0(VALU_DEP_1) | instskip(NEXT) | instid1(VALU_DEP_1)
	;; [unrolled: 3-line block ×3, first 2 shown]
	v_cndmask_b32_e64 v39, v39, v35, s93
	v_cndmask_b32_e32 v39, v39, v36, vcc_lo
	s_delay_alu instid0(VALU_DEP_1) | instskip(SKIP_1) | instid1(VALU_DEP_2)
	v_cndmask_b32_e64 v34, v39, v37, s94
	v_cndmask_b32_e64 v39, 4, 6, s82
	;; [unrolled: 1-line block ×3, first 2 shown]
	s_delay_alu instid0(VALU_DEP_1)
	v_and_b32_e32 v34, 0xff, v34
	ds_swizzle_b32 v34, v34 offset:swizzle(SWAP,2)
	s_waitcnt lgkmcnt(0)
	v_cndmask_b32_e64 v7, v7, v34, s83
	v_cndmask_b32_e64 v25, v25, v34, s96
	;; [unrolled: 1-line block ×3, first 2 shown]
	v_cmp_eq_u32_e64 s84, 1, v39
	v_cmp_eq_u32_e64 s96, 2, v39
	v_cndmask_b32_e64 v27, v27, v34, s82
	v_cndmask_b32_e64 v28, v28, v34, s85
	v_cmp_eq_u32_e64 s85, 3, v39
	v_cndmask_b32_e64 v38, v25, v7, s84
	v_cndmask_b32_e64 v29, v29, v34, s86
	;; [unrolled: 3-line block ×3, first 2 shown]
	v_cndmask_b32_e64 v38, v38, v26, s96
	v_cmp_eq_u32_e64 s87, 7, v39
	v_cndmask_b32_e64 v32, v32, v34, s89
	v_cmp_eq_u32_e64 s88, 8, v39
	v_cndmask_b32_e64 v33, v33, v34, s90
	v_cndmask_b32_e64 v38, v38, v27, s85
	v_cmp_eq_u32_e64 s89, 9, v39
	v_cndmask_b32_e64 v5, v5, v34, s91
	v_cmp_eq_u32_e64 s90, 10, v39
	v_cndmask_b32_e64 v4, v4, v34, s92
	v_cndmask_b32_e64 v38, v38, v28, s83
	v_cmp_eq_u32_e64 s91, 11, v39
	v_cndmask_b32_e64 v35, v35, v34, s93
	v_cndmask_b32_e32 v36, v36, v34, vcc_lo
	v_cmp_eq_u32_e32 vcc_lo, 12, v39
	v_cndmask_b32_e64 v38, v38, v29, s86
	v_cmp_eq_u32_e64 s92, 13, v39
	v_cndmask_b32_e64 v37, v37, v34, s94
	v_cmp_eq_u32_e64 s93, 14, v39
	v_cndmask_b32_e64 v6, v6, v34, s95
	v_cndmask_b32_e64 v38, v38, v30, s82
	v_cmp_eq_u32_e64 s94, 15, v39
	s_delay_alu instid0(VALU_DEP_2) | instskip(NEXT) | instid1(VALU_DEP_1)
	v_cndmask_b32_e64 v38, v38, v31, s87
	v_cndmask_b32_e64 v38, v38, v32, s88
	s_delay_alu instid0(VALU_DEP_1) | instskip(NEXT) | instid1(VALU_DEP_1)
	v_cndmask_b32_e64 v38, v38, v33, s89
	v_cndmask_b32_e64 v38, v38, v5, s90
	s_delay_alu instid0(VALU_DEP_1) | instskip(NEXT) | instid1(VALU_DEP_1)
	v_cndmask_b32_e64 v38, v38, v4, s91
	v_cndmask_b32_e32 v38, v38, v35, vcc_lo
	s_delay_alu instid0(VALU_DEP_1) | instskip(NEXT) | instid1(VALU_DEP_1)
	v_cndmask_b32_e64 v38, v38, v36, s92
	v_cndmask_b32_e64 v34, v38, v37, s93
	;; [unrolled: 1-line block ×3, first 2 shown]
	s_delay_alu instid0(VALU_DEP_2) | instskip(NEXT) | instid1(VALU_DEP_2)
	v_cndmask_b32_e64 v34, v34, v6, s94
	v_cmp_eq_u32_e64 s95, 3, v38
	s_delay_alu instid0(VALU_DEP_2)
	v_and_b32_e32 v34, 0xff, v34
	ds_swizzle_b32 v34, v34 offset:swizzle(SWAP,2)
	s_waitcnt lgkmcnt(0)
	v_cndmask_b32_e64 v7, v7, v34, s84
	v_cmp_eq_u32_e64 s84, 0, v39
	v_cndmask_b32_e64 v26, v26, v34, s96
	v_cndmask_b32_e64 v27, v27, v34, s85
	v_cmp_eq_u32_e64 s85, 2, v38
	v_cndmask_b32_e64 v28, v28, v34, s83
	;; [unrolled: 3-line block ×3, first 2 shown]
	v_cmp_eq_u32_e64 s86, 4, v38
	v_cndmask_b32_e64 v30, v30, v34, s82
	v_cndmask_b32_e64 v31, v31, v34, s87
	;; [unrolled: 1-line block ×3, first 2 shown]
	v_cmp_eq_u32_e64 s87, 6, v38
	v_cndmask_b32_e64 v32, v32, v34, s88
	v_cmp_eq_u32_e64 s88, 8, v38
	v_cndmask_b32_e64 v33, v33, v34, s89
	v_cndmask_b32_e64 v39, v39, v26, s85
	v_cmp_eq_u32_e64 s89, 9, v38
	v_cndmask_b32_e64 v5, v5, v34, s90
	v_cmp_eq_u32_e64 s90, 10, v38
	v_cndmask_b32_e64 v4, v4, v34, s91
	v_cndmask_b32_e64 v39, v39, v27, s95
	v_cndmask_b32_e32 v35, v35, v34, vcc_lo
	v_cmp_eq_u32_e32 vcc_lo, 11, v38
	v_cmp_eq_u32_e64 s91, 12, v38
	v_cndmask_b32_e64 v36, v36, v34, s92
	v_cndmask_b32_e64 v39, v39, v28, s86
	v_cmp_eq_u32_e64 s92, 13, v38
	v_cndmask_b32_e64 v37, v37, v34, s93
	v_cmp_eq_u32_e64 s93, 14, v38
	v_cndmask_b32_e64 v6, v6, v34, s94
	v_cndmask_b32_e64 v39, v39, v29, s83
	v_cmp_eq_u32_e64 s94, 15, v38
	s_delay_alu instid0(VALU_DEP_2) | instskip(NEXT) | instid1(VALU_DEP_1)
	v_cndmask_b32_e64 v39, v39, v30, s87
	v_cndmask_b32_e64 v39, v39, v31, s82
	s_delay_alu instid0(VALU_DEP_1) | instskip(NEXT) | instid1(VALU_DEP_1)
	v_cndmask_b32_e64 v39, v39, v32, s88
	v_cndmask_b32_e64 v39, v39, v33, s89
	s_delay_alu instid0(VALU_DEP_1) | instskip(NEXT) | instid1(VALU_DEP_1)
	v_cndmask_b32_e64 v39, v39, v5, s90
	v_cndmask_b32_e32 v39, v39, v4, vcc_lo
	s_delay_alu instid0(VALU_DEP_1) | instskip(NEXT) | instid1(VALU_DEP_1)
	v_cndmask_b32_e64 v39, v39, v35, s91
	v_cndmask_b32_e64 v39, v39, v36, s92
	s_delay_alu instid0(VALU_DEP_1) | instskip(SKIP_1) | instid1(VALU_DEP_2)
	v_cndmask_b32_e64 v34, v39, v37, s93
	v_cndmask_b32_e64 v39, 8, 10, s82
	;; [unrolled: 1-line block ×3, first 2 shown]
	s_delay_alu instid0(VALU_DEP_2) | instskip(NEXT) | instid1(VALU_DEP_2)
	v_cmp_eq_u32_e64 s96, 6, v39
	v_and_b32_e32 v34, 0xff, v34
	ds_swizzle_b32 v34, v34 offset:swizzle(SWAP,2)
	s_waitcnt lgkmcnt(0)
	v_cndmask_b32_e64 v7, v7, v34, s84
	v_cmp_eq_u32_e64 s84, 0, v38
	v_cndmask_b32_e64 v26, v26, v34, s85
	v_cmp_eq_u32_e64 s85, 2, v39
	v_cndmask_b32_e64 v27, v27, v34, s95
	v_cndmask_b32_e64 v28, v28, v34, s86
	;; [unrolled: 1-line block ×3, first 2 shown]
	v_cmp_eq_u32_e64 s84, 1, v39
	v_cmp_eq_u32_e64 s86, 3, v39
	v_cmp_eq_u32_e64 s95, 4, v39
	v_cndmask_b32_e64 v29, v29, v34, s83
	v_cndmask_b32_e64 v30, v30, v34, s87
	;; [unrolled: 1-line block ×3, first 2 shown]
	v_cmp_eq_u32_e64 s87, 5, v39
	v_cndmask_b32_e64 v31, v31, v34, s82
	v_cndmask_b32_e64 v32, v32, v34, s88
	v_cmp_eq_u32_e64 s88, 7, v39
	v_cndmask_b32_e64 v38, v38, v26, s85
	v_cndmask_b32_e64 v33, v33, v34, s89
	v_cmp_eq_u32_e64 s89, 9, v39
	v_cndmask_b32_e64 v5, v5, v34, s90
	v_cndmask_b32_e32 v4, v4, v34, vcc_lo
	v_cndmask_b32_e64 v38, v38, v27, s86
	v_cmp_eq_u32_e32 vcc_lo, 11, v39
	v_cndmask_b32_e64 v35, v35, v34, s91
	v_cmp_eq_u32_e64 s90, 12, v39
	v_cndmask_b32_e64 v36, v36, v34, s92
	v_cndmask_b32_e64 v38, v38, v28, s95
	v_cmp_eq_u32_e64 s91, 13, v39
	v_cndmask_b32_e64 v37, v37, v34, s93
	v_cmp_eq_u32_e64 s92, 14, v39
	v_cndmask_b32_e64 v6, v6, v34, s94
	v_cndmask_b32_e64 v38, v38, v29, s87
	v_cmp_eq_u32_e64 s93, 15, v39
	s_delay_alu instid0(VALU_DEP_2) | instskip(NEXT) | instid1(VALU_DEP_1)
	v_cndmask_b32_e64 v38, v38, v30, s96
	v_cndmask_b32_e64 v38, v38, v31, s88
	s_delay_alu instid0(VALU_DEP_1) | instskip(NEXT) | instid1(VALU_DEP_1)
	v_cndmask_b32_e64 v38, v38, v32, s83
	v_cndmask_b32_e64 v38, v38, v33, s89
	s_delay_alu instid0(VALU_DEP_1) | instskip(NEXT) | instid1(VALU_DEP_1)
	v_cndmask_b32_e64 v38, v38, v5, s82
	v_cndmask_b32_e32 v38, v38, v4, vcc_lo
	s_delay_alu instid0(VALU_DEP_1) | instskip(NEXT) | instid1(VALU_DEP_1)
	v_cndmask_b32_e64 v38, v38, v35, s90
	v_cndmask_b32_e64 v38, v38, v36, s91
	s_delay_alu instid0(VALU_DEP_1) | instskip(SKIP_1) | instid1(VALU_DEP_2)
	v_cndmask_b32_e64 v34, v38, v37, s92
	v_cndmask_b32_e64 v38, 9, 11, s82
	v_cndmask_b32_e64 v34, v34, v6, s93
	s_delay_alu instid0(VALU_DEP_2) | instskip(NEXT) | instid1(VALU_DEP_2)
	v_cmp_eq_u32_e64 s94, 5, v38
	v_and_b32_e32 v34, 0xff, v34
	ds_swizzle_b32 v34, v34 offset:swizzle(SWAP,2)
	s_waitcnt lgkmcnt(0)
	v_cndmask_b32_e64 v7, v7, v34, s84
	v_cmp_eq_u32_e64 s84, 0, v39
	v_cndmask_b32_e64 v26, v26, v34, s85
	v_cmp_eq_u32_e64 s85, 2, v38
	;; [unrolled: 2-line block ×4, first 2 shown]
	v_cndmask_b32_e64 v28, v28, v34, s95
	v_cndmask_b32_e64 v29, v29, v34, s87
	v_cmp_eq_u32_e64 s87, 4, v38
	v_cndmask_b32_e64 v30, v30, v34, s96
	v_cndmask_b32_e64 v39, v25, v7, s84
	;; [unrolled: 1-line block ×3, first 2 shown]
	v_cmp_eq_u32_e64 s88, 6, v38
	v_cmp_eq_u32_e64 s95, 7, v38
	v_cndmask_b32_e64 v32, v32, v34, s83
	v_cndmask_b32_e64 v39, v39, v26, s85
	;; [unrolled: 1-line block ×3, first 2 shown]
	v_cmp_eq_u32_e64 s89, 8, v38
	v_cndmask_b32_e64 v5, v5, v34, s82
	v_cndmask_b32_e32 v4, v4, v34, vcc_lo
	v_cndmask_b32_e64 v39, v39, v27, s86
	v_cmp_eq_u32_e32 vcc_lo, 10, v38
	v_cndmask_b32_e64 v35, v35, v34, s90
	v_cmp_eq_u32_e64 s90, 12, v38
	v_cndmask_b32_e64 v36, v36, v34, s91
	v_cndmask_b32_e64 v39, v39, v28, s87
	v_cmp_eq_u32_e64 s91, 13, v38
	v_cndmask_b32_e64 v37, v37, v34, s92
	v_cmp_eq_u32_e64 s92, 14, v38
	v_cndmask_b32_e64 v6, v6, v34, s93
	v_cndmask_b32_e64 v39, v39, v29, s94
	v_cmp_eq_u32_e64 s93, 15, v38
	s_delay_alu instid0(VALU_DEP_2) | instskip(NEXT) | instid1(VALU_DEP_1)
	v_cndmask_b32_e64 v39, v39, v30, s88
	v_cndmask_b32_e64 v39, v39, v31, s95
	s_delay_alu instid0(VALU_DEP_1) | instskip(NEXT) | instid1(VALU_DEP_1)
	v_cndmask_b32_e64 v39, v39, v32, s89
	v_cndmask_b32_e64 v39, v39, v33, s83
	s_delay_alu instid0(VALU_DEP_1) | instskip(NEXT) | instid1(VALU_DEP_1)
	v_cndmask_b32_e32 v39, v39, v5, vcc_lo
	v_cndmask_b32_e64 v39, v39, v4, s82
	s_delay_alu instid0(VALU_DEP_1) | instskip(NEXT) | instid1(VALU_DEP_1)
	v_cndmask_b32_e64 v39, v39, v35, s90
	v_cndmask_b32_e64 v39, v39, v36, s91
	s_delay_alu instid0(VALU_DEP_1) | instskip(SKIP_1) | instid1(VALU_DEP_2)
	v_cndmask_b32_e64 v34, v39, v37, s92
	v_cndmask_b32_e64 v39, 12, 14, s82
	;; [unrolled: 1-line block ×3, first 2 shown]
	s_delay_alu instid0(VALU_DEP_2) | instskip(NEXT) | instid1(VALU_DEP_2)
	v_cmp_eq_u32_e64 s96, 10, v39
	v_and_b32_e32 v34, 0xff, v34
	ds_swizzle_b32 v34, v34 offset:swizzle(SWAP,2)
	s_waitcnt lgkmcnt(0)
	v_cndmask_b32_e64 v7, v7, v34, s84
	v_cmp_eq_u32_e64 s84, 0, v38
	v_cndmask_b32_e64 v26, v26, v34, s85
	v_cmp_eq_u32_e64 s85, 2, v39
	;; [unrolled: 2-line block ×5, first 2 shown]
	v_cndmask_b32_e64 v29, v29, v34, s94
	v_cndmask_b32_e64 v30, v30, v34, s88
	;; [unrolled: 1-line block ×3, first 2 shown]
	v_cmp_eq_u32_e64 s88, 5, v39
	v_cmp_eq_u32_e64 s94, 6, v39
	v_cndmask_b32_e64 v31, v31, v34, s95
	v_cndmask_b32_e64 v32, v32, v34, s89
	;; [unrolled: 1-line block ×3, first 2 shown]
	v_cmp_eq_u32_e64 s89, 7, v39
	v_cmp_eq_u32_e64 s95, 8, v39
	v_cndmask_b32_e64 v33, v33, v34, s83
	v_cndmask_b32_e32 v5, v5, v34, vcc_lo
	v_cndmask_b32_e64 v38, v38, v27, s86
	v_cmp_eq_u32_e32 vcc_lo, 9, v39
	v_cndmask_b32_e64 v4, v4, v34, s82
	v_cndmask_b32_e64 v35, v35, v34, s90
	v_cmp_eq_u32_e64 s90, 11, v39
	v_cndmask_b32_e64 v38, v38, v28, s87
	v_cndmask_b32_e64 v36, v36, v34, s91
	v_cmp_eq_u32_e64 s91, 13, v39
	v_cndmask_b32_e64 v37, v37, v34, s92
	v_cndmask_b32_e64 v6, v6, v34, s93
	;; [unrolled: 1-line block ×3, first 2 shown]
	v_cmp_eq_u32_e64 s92, 15, v39
	s_delay_alu instid0(VALU_DEP_2) | instskip(NEXT) | instid1(VALU_DEP_1)
	v_cndmask_b32_e64 v38, v38, v30, s94
	v_cndmask_b32_e64 v38, v38, v31, s89
	s_delay_alu instid0(VALU_DEP_1) | instskip(NEXT) | instid1(VALU_DEP_1)
	v_cndmask_b32_e64 v38, v38, v32, s95
	v_cndmask_b32_e32 v38, v38, v33, vcc_lo
	s_delay_alu instid0(VALU_DEP_1) | instskip(NEXT) | instid1(VALU_DEP_1)
	v_cndmask_b32_e64 v38, v38, v5, s96
	v_cndmask_b32_e64 v38, v38, v4, s90
	s_delay_alu instid0(VALU_DEP_1) | instskip(NEXT) | instid1(VALU_DEP_1)
	v_cndmask_b32_e64 v38, v38, v35, s83
	v_cndmask_b32_e64 v38, v38, v36, s91
	s_delay_alu instid0(VALU_DEP_1) | instskip(SKIP_1) | instid1(VALU_DEP_2)
	v_cndmask_b32_e64 v34, v38, v37, s82
	v_cndmask_b32_e64 v38, 13, 15, s82
	;; [unrolled: 1-line block ×3, first 2 shown]
	s_delay_alu instid0(VALU_DEP_2) | instskip(NEXT) | instid1(VALU_DEP_2)
	v_cmp_eq_u32_e64 s93, 7, v38
	v_and_b32_e32 v34, 0xff, v34
	ds_swizzle_b32 v34, v34 offset:swizzle(SWAP,2)
	s_waitcnt lgkmcnt(0)
	v_cndmask_b32_e64 v7, v7, v34, s84
	v_cmp_eq_u32_e64 s84, 0, v39
	v_cndmask_b32_e64 v26, v26, v34, s85
	v_cmp_eq_u32_e64 s85, 2, v38
	;; [unrolled: 2-line block ×6, first 2 shown]
	v_cndmask_b32_e64 v39, v25, v7, s84
	v_cndmask_b32_e64 v30, v30, v34, s94
	;; [unrolled: 1-line block ×3, first 2 shown]
	v_cmp_eq_u32_e64 s89, 6, v38
	v_cndmask_b32_e64 v32, v32, v34, s95
	v_cndmask_b32_e64 v39, v39, v26, s85
	v_cmp_eq_u32_e64 s94, 8, v38
	v_cndmask_b32_e32 v33, v33, v34, vcc_lo
	v_cmp_eq_u32_e64 s95, 9, v38
	v_cndmask_b32_e64 v5, v5, v34, s96
	v_cndmask_b32_e64 v39, v39, v27, s86
	;; [unrolled: 1-line block ×3, first 2 shown]
	v_cmp_eq_u32_e64 s90, 10, v38
	v_cmp_eq_u32_e64 s96, 11, v38
	v_cndmask_b32_e64 v35, v35, v34, s83
	v_cndmask_b32_e64 v39, v39, v28, s87
	;; [unrolled: 1-line block ×3, first 2 shown]
	v_cmp_eq_u32_e64 s91, 12, v38
	v_cndmask_b32_e64 v37, v37, v34, s82
	v_cndmask_b32_e64 v6, v6, v34, s92
	;; [unrolled: 1-line block ×3, first 2 shown]
	v_cmp_eq_u32_e64 s92, 14, v38
	v_cmp_eq_u32_e32 vcc_lo, 0, v38
	s_delay_alu instid0(VALU_DEP_3) | instskip(NEXT) | instid1(VALU_DEP_1)
	v_cndmask_b32_e64 v39, v39, v30, s89
	v_cndmask_b32_e64 v39, v39, v31, s93
	s_delay_alu instid0(VALU_DEP_1) | instskip(NEXT) | instid1(VALU_DEP_1)
	v_cndmask_b32_e64 v39, v39, v32, s94
	v_cndmask_b32_e64 v39, v39, v33, s95
	s_delay_alu instid0(VALU_DEP_1) | instskip(NEXT) | instid1(VALU_DEP_1)
	;; [unrolled: 3-line block ×3, first 2 shown]
	v_cndmask_b32_e64 v39, v39, v35, s91
	v_cndmask_b32_e64 v39, v39, v36, s83
	s_delay_alu instid0(VALU_DEP_1) | instskip(SKIP_1) | instid1(VALU_DEP_2)
	v_cndmask_b32_e64 v34, v39, v37, s92
	v_and_b32_e32 v39, 1, v9
	v_cndmask_b32_e64 v34, v34, v6, s82
	s_delay_alu instid0(VALU_DEP_2) | instskip(NEXT) | instid1(VALU_DEP_2)
	v_xor_b32_e32 v38, 1, v39
	v_and_b32_e32 v34, 0xff, v34
	ds_swizzle_b32 v34, v34 offset:swizzle(SWAP,2)
	s_waitcnt lgkmcnt(0)
	v_cndmask_b32_e32 v25, v25, v34, vcc_lo
	v_cndmask_b32_e64 v7, v7, v34, s84
	v_cmp_eq_u32_e32 vcc_lo, 1, v39
	v_cndmask_b32_e64 v26, v26, v34, s85
	v_cmp_eq_u32_e64 s84, 2, v38
	v_cndmask_b32_e64 v27, v27, v34, s86
	v_cmp_eq_u32_e64 s85, 3, v38
	v_cndmask_b32_e32 v40, v7, v25, vcc_lo
	v_cndmask_b32_e64 v28, v28, v34, s87
	v_cmp_eq_u32_e64 s86, 4, v38
	v_cndmask_b32_e64 v29, v29, v34, s88
	v_cmp_eq_u32_e64 s87, 5, v38
	v_cndmask_b32_e64 v40, v40, v26, s84
	v_cndmask_b32_e64 v30, v30, v34, s89
	v_cmp_eq_u32_e64 s88, 6, v38
	v_cndmask_b32_e64 v31, v31, v34, s93
	v_cmp_eq_u32_e64 s89, 7, v38
	v_cndmask_b32_e64 v40, v40, v27, s85
	v_cndmask_b32_e64 v32, v32, v34, s94
	v_cmp_eq_u32_e64 s93, 8, v38
	v_cndmask_b32_e64 v33, v33, v34, s95
	v_cndmask_b32_e64 v5, v5, v34, s90
	;; [unrolled: 1-line block ×3, first 2 shown]
	v_cmp_eq_u32_e64 s90, 9, v38
	v_cmp_eq_u32_e64 s94, 10, v38
	v_cndmask_b32_e64 v4, v4, v34, s96
	v_cndmask_b32_e64 v35, v35, v34, s91
	;; [unrolled: 1-line block ×3, first 2 shown]
	v_cmp_eq_u32_e64 s91, 11, v38
	v_cndmask_b32_e64 v36, v36, v34, s83
	v_cmp_eq_u32_e64 s83, 12, v38
	v_cndmask_b32_e64 v37, v37, v34, s92
	v_cndmask_b32_e64 v40, v40, v30, s88
	v_cmp_eq_u32_e64 s92, 13, v38
	v_cmp_eq_u32_e64 s95, 14, v38
	v_cndmask_b32_e64 v6, v6, v34, s82
	v_cmp_eq_u32_e64 s96, 15, v38
	v_cndmask_b32_e64 v40, v40, v31, s89
	v_cmp_eq_u32_e64 s82, 0, v39
	s_delay_alu instid0(VALU_DEP_2) | instskip(NEXT) | instid1(VALU_DEP_2)
	v_cndmask_b32_e64 v40, v40, v32, s93
	v_cndmask_b32_e64 v38, 2, 3, s82
	s_delay_alu instid0(VALU_DEP_2) | instskip(NEXT) | instid1(VALU_DEP_1)
	v_cndmask_b32_e64 v40, v40, v33, s90
	v_cndmask_b32_e64 v40, v40, v5, s94
	s_delay_alu instid0(VALU_DEP_1) | instskip(NEXT) | instid1(VALU_DEP_1)
	v_cndmask_b32_e64 v40, v40, v4, s91
	v_cndmask_b32_e64 v40, v40, v35, s83
	s_delay_alu instid0(VALU_DEP_1) | instskip(NEXT) | instid1(VALU_DEP_1)
	;; [unrolled: 3-line block ×3, first 2 shown]
	v_cndmask_b32_e64 v34, v34, v6, s96
	v_and_b32_e32 v34, 0xff, v34
	ds_swizzle_b32 v34, v34 offset:swizzle(SWAP,1)
	s_waitcnt lgkmcnt(0)
	v_cndmask_b32_e32 v7, v34, v7, vcc_lo
	v_cndmask_b32_e32 v25, v25, v34, vcc_lo
	v_cndmask_b32_e64 v26, v26, v34, s84
	v_cmp_eq_u32_e64 s84, 1, v38
	v_cndmask_b32_e64 v27, v27, v34, s85
	v_cndmask_b32_e64 v28, v28, v34, s86
	v_cmp_eq_u32_e64 s85, 4, v38
	v_cndmask_b32_e64 v29, v29, v34, s87
	;; [unrolled: 3-line block ×3, first 2 shown]
	v_cmp_eq_u32_e64 s87, 6, v38
	v_cndmask_b32_e64 v31, v31, v34, s89
	v_cndmask_b32_e32 v39, v39, v26, vcc_lo
	v_cmp_eq_u32_e64 s88, 7, v38
	v_cndmask_b32_e64 v32, v32, v34, s93
	v_cmp_eq_u32_e64 s89, 8, v38
	v_cndmask_b32_e64 v33, v33, v34, s90
	v_cndmask_b32_e64 v39, v39, v27, s82
	v_cmp_eq_u32_e64 s90, 9, v38
	v_cndmask_b32_e64 v5, v5, v34, s94
	;; [unrolled: 3-line block ×4, first 2 shown]
	v_cmp_eq_u32_e64 s92, 12, v38
	v_cndmask_b32_e64 v39, v39, v29, s86
	v_cmp_eq_u32_e64 s93, 13, v38
	v_cndmask_b32_e64 v37, v37, v34, s95
	;; [unrolled: 2-line block ×3, first 2 shown]
	v_cndmask_b32_e64 v39, v39, v30, s87
	v_cmp_eq_u32_e64 s95, 15, v38
	s_delay_alu instid0(VALU_DEP_2) | instskip(NEXT) | instid1(VALU_DEP_1)
	v_cndmask_b32_e64 v39, v39, v31, s88
	v_cndmask_b32_e64 v39, v39, v32, s89
	s_delay_alu instid0(VALU_DEP_1) | instskip(NEXT) | instid1(VALU_DEP_1)
	v_cndmask_b32_e64 v39, v39, v33, s90
	v_cndmask_b32_e64 v39, v39, v5, s91
	s_delay_alu instid0(VALU_DEP_1) | instskip(NEXT) | instid1(VALU_DEP_1)
	;; [unrolled: 3-line block ×3, first 2 shown]
	v_cndmask_b32_e64 v39, v39, v36, s93
	v_cndmask_b32_e64 v34, v39, v37, s94
	;; [unrolled: 1-line block ×3, first 2 shown]
	s_delay_alu instid0(VALU_DEP_2) | instskip(NEXT) | instid1(VALU_DEP_2)
	v_cndmask_b32_e64 v34, v34, v6, s95
	v_cmp_eq_u32_e64 s96, 2, v39
	s_delay_alu instid0(VALU_DEP_2)
	v_and_b32_e32 v34, 0xff, v34
	ds_swizzle_b32 v34, v34 offset:swizzle(SWAP,1)
	s_waitcnt lgkmcnt(0)
	v_cndmask_b32_e64 v7, v7, v34, s84
	v_cmp_eq_u32_e64 s84, 0, v38
	v_cndmask_b32_e32 v26, v26, v34, vcc_lo
	v_cndmask_b32_e64 v27, v27, v34, s82
	v_cndmask_b32_e64 v28, v28, v34, s85
	v_cmp_eq_u32_e64 s85, 3, v39
	v_cndmask_b32_e64 v25, v25, v34, s84
	v_cmp_eq_u32_e64 s84, 1, v39
	v_cndmask_b32_e64 v29, v29, v34, s86
	v_cndmask_b32_e64 v30, v30, v34, s87
	v_cmp_eq_u32_e64 s86, 6, v39
	v_cndmask_b32_e64 v31, v31, v34, s88
	;; [unrolled: 3-line block ×3, first 2 shown]
	v_cmp_eq_u32_e64 s88, 8, v39
	v_cndmask_b32_e64 v33, v33, v34, s90
	v_cndmask_b32_e64 v38, v38, v26, s96
	v_cmp_eq_u32_e64 s89, 9, v39
	v_cndmask_b32_e64 v5, v5, v34, s91
	v_cndmask_b32_e64 v4, v4, v34, s83
	v_cmp_eq_u32_e64 s83, 10, v39
	v_cndmask_b32_e64 v38, v38, v27, s85
	v_cmp_eq_u32_e64 s90, 11, v39
	;; [unrolled: 2-line block ×3, first 2 shown]
	v_cndmask_b32_e64 v36, v36, v34, s93
	v_cndmask_b32_e32 v38, v38, v28, vcc_lo
	v_cmp_eq_u32_e64 s92, 13, v39
	v_cndmask_b32_e64 v37, v37, v34, s94
	v_cmp_eq_u32_e64 s93, 14, v39
	v_cndmask_b32_e64 v6, v6, v34, s95
	v_cndmask_b32_e64 v38, v38, v29, s82
	v_cmp_eq_u32_e64 s94, 15, v39
	s_delay_alu instid0(VALU_DEP_2) | instskip(NEXT) | instid1(VALU_DEP_1)
	v_cndmask_b32_e64 v38, v38, v30, s86
	v_cndmask_b32_e64 v38, v38, v31, s87
	s_delay_alu instid0(VALU_DEP_1) | instskip(NEXT) | instid1(VALU_DEP_1)
	v_cndmask_b32_e64 v38, v38, v32, s88
	v_cndmask_b32_e64 v38, v38, v33, s89
	s_delay_alu instid0(VALU_DEP_1) | instskip(NEXT) | instid1(VALU_DEP_1)
	;; [unrolled: 3-line block ×3, first 2 shown]
	v_cndmask_b32_e64 v38, v38, v35, s91
	v_cndmask_b32_e64 v38, v38, v36, s92
	s_delay_alu instid0(VALU_DEP_1) | instskip(SKIP_1) | instid1(VALU_DEP_2)
	v_cndmask_b32_e64 v34, v38, v37, s93
	v_cndmask_b32_e64 v38, 6, 7, s82
	;; [unrolled: 1-line block ×3, first 2 shown]
	s_delay_alu instid0(VALU_DEP_2) | instskip(NEXT) | instid1(VALU_DEP_2)
	v_cmp_eq_u32_e64 s95, 3, v38
	v_and_b32_e32 v34, 0xff, v34
	ds_swizzle_b32 v34, v34 offset:swizzle(SWAP,1)
	s_waitcnt lgkmcnt(0)
	v_cndmask_b32_e64 v7, v7, v34, s84
	v_cmp_eq_u32_e64 s84, 0, v39
	v_cndmask_b32_e64 v26, v26, v34, s96
	v_cndmask_b32_e64 v27, v27, v34, s85
	v_cmp_eq_u32_e64 s85, 2, v38
	v_cndmask_b32_e32 v28, v28, v34, vcc_lo
	v_cndmask_b32_e64 v25, v25, v34, s84
	v_cmp_eq_u32_e64 s84, 1, v38
	v_cmp_eq_u32_e64 s96, 4, v38
	v_cndmask_b32_e64 v29, v29, v34, s82
	v_cndmask_b32_e64 v30, v30, v34, s86
	v_cmp_eq_u32_e64 s86, 5, v38
	v_cndmask_b32_e64 v39, v25, v7, s84
	v_cndmask_b32_e64 v31, v31, v34, s87
	;; [unrolled: 1-line block ×3, first 2 shown]
	v_cmp_eq_u32_e64 s87, 8, v38
	v_cndmask_b32_e64 v33, v33, v34, s89
	v_cndmask_b32_e64 v39, v39, v26, s85
	;; [unrolled: 1-line block ×3, first 2 shown]
	v_cmp_eq_u32_e64 s83, 9, v38
	v_cmp_eq_u32_e64 s88, 10, v38
	v_cndmask_b32_e64 v4, v4, v34, s90
	v_cndmask_b32_e64 v39, v39, v27, s95
	v_cmp_eq_u32_e64 s89, 11, v38
	v_cndmask_b32_e64 v35, v35, v34, s91
	v_cmp_eq_u32_e64 s90, 12, v38
	v_cndmask_b32_e64 v36, v36, v34, s92
	v_cndmask_b32_e64 v39, v39, v28, s96
	v_cmp_eq_u32_e64 s91, 13, v38
	v_cndmask_b32_e64 v37, v37, v34, s93
	v_cmp_eq_u32_e64 s92, 14, v38
	v_cndmask_b32_e64 v6, v6, v34, s94
	v_cndmask_b32_e64 v39, v39, v29, s86
	v_cmp_eq_u32_e64 s93, 15, v38
	s_delay_alu instid0(VALU_DEP_2) | instskip(NEXT) | instid1(VALU_DEP_1)
	v_cndmask_b32_e32 v39, v39, v30, vcc_lo
	v_cndmask_b32_e64 v39, v39, v31, s82
	s_delay_alu instid0(VALU_DEP_1) | instskip(NEXT) | instid1(VALU_DEP_1)
	v_cndmask_b32_e64 v39, v39, v32, s87
	v_cndmask_b32_e64 v39, v39, v33, s83
	s_delay_alu instid0(VALU_DEP_1) | instskip(NEXT) | instid1(VALU_DEP_1)
	v_cndmask_b32_e64 v39, v39, v5, s88
	v_cndmask_b32_e64 v39, v39, v4, s89
	s_delay_alu instid0(VALU_DEP_1) | instskip(NEXT) | instid1(VALU_DEP_1)
	v_cndmask_b32_e64 v39, v39, v35, s90
	v_cndmask_b32_e64 v39, v39, v36, s91
	s_delay_alu instid0(VALU_DEP_1) | instskip(SKIP_1) | instid1(VALU_DEP_2)
	v_cndmask_b32_e64 v34, v39, v37, s92
	v_cndmask_b32_e64 v39, 8, 9, s82
	;; [unrolled: 1-line block ×3, first 2 shown]
	s_delay_alu instid0(VALU_DEP_2) | instskip(NEXT) | instid1(VALU_DEP_2)
	v_cmp_eq_u32_e64 s94, 3, v39
	v_and_b32_e32 v34, 0xff, v34
	ds_swizzle_b32 v34, v34 offset:swizzle(SWAP,1)
	s_waitcnt lgkmcnt(0)
	v_cndmask_b32_e64 v7, v7, v34, s84
	v_cmp_eq_u32_e64 s84, 0, v38
	v_cndmask_b32_e64 v26, v26, v34, s85
	v_cmp_eq_u32_e64 s85, 2, v39
	v_cndmask_b32_e64 v27, v27, v34, s95
	v_cndmask_b32_e64 v28, v28, v34, s96
	;; [unrolled: 1-line block ×3, first 2 shown]
	v_cmp_eq_u32_e64 s84, 1, v39
	v_cndmask_b32_e64 v29, v29, v34, s86
	v_cmp_eq_u32_e64 s86, 4, v39
	v_cmp_eq_u32_e64 s95, 5, v39
	v_cndmask_b32_e32 v30, v30, v34, vcc_lo
	v_cndmask_b32_e64 v38, v25, v7, s84
	v_cmp_eq_u32_e64 s96, 6, v39
	v_cndmask_b32_e64 v31, v31, v34, s82
	v_cndmask_b32_e64 v32, v32, v34, s87
	v_cmp_eq_u32_e64 s87, 7, v39
	v_cndmask_b32_e64 v38, v38, v26, s85
	v_cndmask_b32_e64 v33, v33, v34, s83
	;; [unrolled: 1-line block ×3, first 2 shown]
	v_cmp_eq_u32_e64 s83, 10, v39
	v_cndmask_b32_e64 v4, v4, v34, s89
	v_cndmask_b32_e64 v38, v38, v27, s94
	v_cmp_eq_u32_e64 s88, 11, v39
	v_cndmask_b32_e64 v35, v35, v34, s90
	v_cmp_eq_u32_e64 s89, 12, v39
	v_cndmask_b32_e64 v36, v36, v34, s91
	v_cndmask_b32_e64 v38, v38, v28, s86
	v_cmp_eq_u32_e64 s90, 13, v39
	v_cndmask_b32_e64 v37, v37, v34, s92
	v_cmp_eq_u32_e64 s91, 14, v39
	v_cndmask_b32_e64 v6, v6, v34, s93
	v_cndmask_b32_e64 v38, v38, v29, s95
	v_cmp_eq_u32_e64 s92, 15, v39
	s_delay_alu instid0(VALU_DEP_2) | instskip(NEXT) | instid1(VALU_DEP_1)
	v_cndmask_b32_e64 v38, v38, v30, s96
	v_cndmask_b32_e64 v38, v38, v31, s87
	s_delay_alu instid0(VALU_DEP_1) | instskip(NEXT) | instid1(VALU_DEP_1)
	v_cndmask_b32_e32 v38, v38, v32, vcc_lo
	v_cndmask_b32_e64 v38, v38, v33, s82
	s_delay_alu instid0(VALU_DEP_1) | instskip(NEXT) | instid1(VALU_DEP_1)
	v_cndmask_b32_e64 v38, v38, v5, s83
	v_cndmask_b32_e64 v38, v38, v4, s88
	s_delay_alu instid0(VALU_DEP_1) | instskip(NEXT) | instid1(VALU_DEP_1)
	v_cndmask_b32_e64 v38, v38, v35, s89
	v_cndmask_b32_e64 v38, v38, v36, s90
	s_delay_alu instid0(VALU_DEP_1) | instskip(SKIP_1) | instid1(VALU_DEP_2)
	v_cndmask_b32_e64 v34, v38, v37, s91
	v_cndmask_b32_e64 v38, 10, 11, s82
	;; [unrolled: 1-line block ×3, first 2 shown]
	s_delay_alu instid0(VALU_DEP_2) | instskip(NEXT) | instid1(VALU_DEP_2)
	v_cmp_eq_u32_e64 s93, 4, v38
	v_and_b32_e32 v34, 0xff, v34
	ds_swizzle_b32 v34, v34 offset:swizzle(SWAP,1)
	s_waitcnt lgkmcnt(0)
	v_cndmask_b32_e64 v7, v7, v34, s84
	v_cmp_eq_u32_e64 s84, 0, v39
	v_cndmask_b32_e64 v26, v26, v34, s85
	v_cmp_eq_u32_e64 s85, 2, v38
	v_cndmask_b32_e64 v27, v27, v34, s94
	v_cndmask_b32_e64 v28, v28, v34, s86
	;; [unrolled: 1-line block ×3, first 2 shown]
	v_cmp_eq_u32_e64 s84, 1, v38
	v_cmp_eq_u32_e64 s86, 3, v38
	v_cndmask_b32_e64 v29, v29, v34, s95
	v_cmp_eq_u32_e64 s94, 5, v38
	v_cndmask_b32_e64 v30, v30, v34, s96
	v_cndmask_b32_e64 v39, v25, v7, s84
	;; [unrolled: 1-line block ×3, first 2 shown]
	v_cmp_eq_u32_e64 s87, 6, v38
	v_cmp_eq_u32_e64 s95, 7, v38
	v_cndmask_b32_e32 v32, v32, v34, vcc_lo
	v_cndmask_b32_e64 v39, v39, v26, s85
	v_cmp_eq_u32_e64 s96, 8, v38
	v_cndmask_b32_e64 v33, v33, v34, s82
	v_cndmask_b32_e64 v5, v5, v34, s83
	v_cmp_eq_u32_e64 s83, 9, v38
	v_cndmask_b32_e64 v39, v39, v27, s86
	v_cndmask_b32_e64 v4, v4, v34, s88
	;; [unrolled: 1-line block ×3, first 2 shown]
	v_cmp_eq_u32_e64 s88, 12, v38
	v_cndmask_b32_e64 v36, v36, v34, s90
	v_cndmask_b32_e64 v39, v39, v28, s93
	v_cmp_eq_u32_e64 s89, 13, v38
	v_cndmask_b32_e64 v37, v37, v34, s91
	v_cmp_eq_u32_e64 s90, 14, v38
	v_cndmask_b32_e64 v6, v6, v34, s92
	v_cndmask_b32_e64 v39, v39, v29, s94
	v_cmp_eq_u32_e64 s91, 15, v38
	s_delay_alu instid0(VALU_DEP_2) | instskip(NEXT) | instid1(VALU_DEP_1)
	v_cndmask_b32_e64 v39, v39, v30, s87
	v_cndmask_b32_e64 v39, v39, v31, s95
	s_delay_alu instid0(VALU_DEP_1) | instskip(NEXT) | instid1(VALU_DEP_1)
	v_cndmask_b32_e64 v39, v39, v32, s96
	v_cndmask_b32_e64 v39, v39, v33, s83
	s_delay_alu instid0(VALU_DEP_1) | instskip(NEXT) | instid1(VALU_DEP_1)
	v_cndmask_b32_e32 v39, v39, v5, vcc_lo
	v_cndmask_b32_e64 v39, v39, v4, s82
	s_delay_alu instid0(VALU_DEP_1) | instskip(NEXT) | instid1(VALU_DEP_1)
	v_cndmask_b32_e64 v39, v39, v35, s88
	v_cndmask_b32_e64 v39, v39, v36, s89
	s_delay_alu instid0(VALU_DEP_1) | instskip(SKIP_1) | instid1(VALU_DEP_2)
	v_cndmask_b32_e64 v34, v39, v37, s90
	v_cndmask_b32_e64 v39, 12, 13, s82
	;; [unrolled: 1-line block ×3, first 2 shown]
	s_delay_alu instid0(VALU_DEP_2) | instskip(NEXT) | instid1(VALU_DEP_2)
	v_cmp_eq_u32_e64 s92, 4, v39
	v_and_b32_e32 v34, 0xff, v34
	ds_swizzle_b32 v34, v34 offset:swizzle(SWAP,1)
	s_waitcnt lgkmcnt(0)
	v_cndmask_b32_e64 v7, v7, v34, s84
	v_cmp_eq_u32_e64 s84, 0, v38
	v_cndmask_b32_e64 v26, v26, v34, s85
	v_cmp_eq_u32_e64 s85, 2, v39
	;; [unrolled: 2-line block ×4, first 2 shown]
	v_cndmask_b32_e64 v28, v28, v34, s93
	v_cndmask_b32_e64 v29, v29, v34, s94
	;; [unrolled: 1-line block ×3, first 2 shown]
	v_cmp_eq_u32_e64 s87, 5, v39
	v_cndmask_b32_e64 v38, v25, v7, s84
	v_cmp_eq_u32_e64 s93, 6, v39
	v_cndmask_b32_e64 v31, v31, v34, s95
	;; [unrolled: 2-line block ×3, first 2 shown]
	v_cndmask_b32_e64 v38, v38, v26, s85
	v_cndmask_b32_e64 v33, v33, v34, s83
	v_cmp_eq_u32_e64 s83, 8, v39
	v_cmp_eq_u32_e64 s95, 9, v39
	v_cndmask_b32_e32 v5, v5, v34, vcc_lo
	v_cndmask_b32_e64 v38, v38, v27, s86
	v_cmp_eq_u32_e64 s96, 10, v39
	v_cndmask_b32_e64 v4, v4, v34, s82
	v_cndmask_b32_e64 v35, v35, v34, s88
	v_cmp_eq_u32_e64 s88, 11, v39
	v_cndmask_b32_e64 v38, v38, v28, s92
	v_cndmask_b32_e64 v36, v36, v34, s89
	;; [unrolled: 1-line block ×3, first 2 shown]
	v_cmp_eq_u32_e64 s89, 14, v39
	v_cndmask_b32_e64 v6, v6, v34, s91
	v_cndmask_b32_e64 v38, v38, v29, s87
	v_cmp_eq_u32_e64 s90, 15, v39
	s_delay_alu instid0(VALU_DEP_2) | instskip(NEXT) | instid1(VALU_DEP_1)
	v_cndmask_b32_e64 v38, v38, v30, s93
	v_cndmask_b32_e64 v38, v38, v31, s94
	s_delay_alu instid0(VALU_DEP_1) | instskip(NEXT) | instid1(VALU_DEP_1)
	v_cndmask_b32_e64 v38, v38, v32, s83
	v_cndmask_b32_e64 v38, v38, v33, s95
	s_delay_alu instid0(VALU_DEP_1) | instskip(NEXT) | instid1(VALU_DEP_1)
	v_cndmask_b32_e64 v38, v38, v5, s96
	v_cndmask_b32_e64 v38, v38, v4, s88
	s_delay_alu instid0(VALU_DEP_1) | instskip(NEXT) | instid1(VALU_DEP_1)
	v_cndmask_b32_e32 v38, v38, v35, vcc_lo
	v_cndmask_b32_e64 v38, v38, v36, s82
	s_delay_alu instid0(VALU_DEP_1) | instskip(SKIP_1) | instid1(VALU_DEP_2)
	v_cndmask_b32_e64 v34, v38, v37, s89
	v_cndmask_b32_e64 v38, 14, 15, s82
	v_cndmask_b32_e64 v34, v34, v6, s90
	s_delay_alu instid0(VALU_DEP_2) | instskip(NEXT) | instid1(VALU_DEP_2)
	v_cmp_eq_u32_e64 s91, 5, v38
	v_and_b32_e32 v34, 0xff, v34
	ds_swizzle_b32 v34, v34 offset:swizzle(SWAP,1)
	s_waitcnt lgkmcnt(0)
	v_cndmask_b32_e64 v7, v7, v34, s84
	v_cmp_eq_u32_e64 s84, 0, v39
	v_cndmask_b32_e64 v26, v26, v34, s85
	v_cmp_eq_u32_e64 s85, 2, v38
	;; [unrolled: 2-line block ×4, first 2 shown]
	v_cndmask_b32_e64 v28, v28, v34, s92
	v_cndmask_b32_e64 v29, v29, v34, s87
	v_cmp_eq_u32_e64 s87, 4, v38
	v_cndmask_b32_e64 v30, v30, v34, s93
	v_cndmask_b32_e64 v39, v25, v7, s84
	v_cmp_eq_u32_e64 s92, 6, v38
	;; [unrolled: 3-line block ×3, first 2 shown]
	v_cndmask_b32_e64 v39, v39, v26, s85
	v_cmp_eq_u32_e64 s93, 8, v38
	v_cndmask_b32_e64 v33, v33, v34, s95
	v_cmp_eq_u32_e64 s94, 9, v38
	v_cndmask_b32_e64 v5, v5, v34, s96
	v_cndmask_b32_e64 v39, v39, v27, s86
	;; [unrolled: 1-line block ×3, first 2 shown]
	v_cmp_eq_u32_e64 s88, 10, v38
	v_cmp_eq_u32_e64 s95, 11, v38
	v_cndmask_b32_e32 v35, v35, v34, vcc_lo
	v_cndmask_b32_e64 v39, v39, v28, s87
	v_cmp_eq_u32_e64 s96, 12, v38
	v_cndmask_b32_e64 v36, v36, v34, s82
	v_cndmask_b32_e64 v37, v37, v34, s89
	v_cmp_eq_u32_e64 s89, 13, v38
	v_cndmask_b32_e64 v39, v39, v29, s91
	v_cndmask_b32_e64 v6, v6, v34, s90
	s_delay_alu instid0(VALU_DEP_2) | instskip(NEXT) | instid1(VALU_DEP_1)
	v_cndmask_b32_e64 v39, v39, v30, s92
	v_cndmask_b32_e64 v39, v39, v31, s83
	s_delay_alu instid0(VALU_DEP_1) | instskip(NEXT) | instid1(VALU_DEP_1)
	v_cndmask_b32_e64 v39, v39, v32, s93
	v_cndmask_b32_e64 v39, v39, v33, s94
	s_delay_alu instid0(VALU_DEP_1) | instskip(NEXT) | instid1(VALU_DEP_1)
	;; [unrolled: 3-line block ×4, first 2 shown]
	v_cndmask_b32_e32 v34, v39, v37, vcc_lo
	v_cndmask_b32_e64 v34, v34, v6, s82
	s_delay_alu instid0(VALU_DEP_1)
	v_and_b32_e32 v34, 0xff, v34
	ds_swizzle_b32 v34, v34 offset:swizzle(SWAP,1)
	s_waitcnt lgkmcnt(0)
	v_cndmask_b32_e32 v37, v37, v34, vcc_lo
	v_cmp_eq_u32_e32 vcc_lo, 0, v38
	v_cndmask_b32_e64 v36, v36, v34, s89
	v_cndmask_b32_e64 v35, v35, v34, s96
	;; [unrolled: 1-line block ×12, first 2 shown]
	v_cndmask_b32_e32 v25, v25, v34, vcc_lo
	v_cndmask_b32_e64 v27, v27, v34, s86
	v_cndmask_b32_e64 v26, v26, v34, s85
	v_lshlrev_b16 v34, 8, v36
	v_and_b32_e32 v35, 0xff, v35
	v_lshlrev_b16 v6, 8, v6
	v_and_b32_e32 v36, 0xff, v37
	;; [unrolled: 2-line block ×8, first 2 shown]
	v_or_b32_e32 v34, v35, v34
	v_or_b32_e32 v6, v36, v6
	;; [unrolled: 1-line block ×8, first 2 shown]
	v_and_b32_e32 v26, 0xffff, v34
	v_lshlrev_b32_e32 v6, 16, v6
	v_and_b32_e32 v27, 0xffff, v32
	v_lshlrev_b32_e32 v4, 16, v4
	v_lshlrev_b32_e32 v25, 16, v25
	v_and_b32_e32 v5, 0xffff, v5
	v_lshlrev_b32_e32 v28, 16, v28
	v_and_b32_e32 v29, 0xffff, v7
	v_or_b32_e32 v7, v26, v6
	v_or_b32_e32 v6, v27, v4
	s_delay_alu instid0(VALU_DEP_4) | instskip(NEXT) | instid1(VALU_DEP_4)
	v_or_b32_e32 v5, v5, v28
	v_or_b32_e32 v4, v29, v25
	s_cbranch_execz .LBB11_3
	s_branch .LBB11_4
.LBB11_2:
                                        ; implicit-def: $vgpr4_vgpr5_vgpr6_vgpr7
	s_and_not1_b32 vcc_lo, exec_lo, s82
	s_cbranch_vccnz .LBB11_4
.LBB11_3:
	ds_swizzle_b32 v6, v24 offset:swizzle(SWAP,8)
	v_lshrrev_b64 v[4:5], 24, v[0:1]
	v_cmp_eq_u32_e32 vcc_lo, 1, v13
	s_waitcnt lgkmcnt(0)
	v_cndmask_b32_e64 v7, v15, v6, s68
	v_cndmask_b32_e64 v15, v0, v6, s66
	;; [unrolled: 1-line block ×12, first 2 shown]
	s_delay_alu instid0(VALU_DEP_1) | instskip(NEXT) | instid1(VALU_DEP_1)
	v_cndmask_b32_e64 v0, v0, v4, s33
	v_cndmask_b32_e64 v0, v0, v14, s29
	s_delay_alu instid0(VALU_DEP_1) | instskip(NEXT) | instid1(VALU_DEP_1)
	v_cndmask_b32_e64 v0, v0, v16, s26
	v_cndmask_b32_e64 v0, v0, v17, s25
	;; [unrolled: 3-line block ×3, first 2 shown]
	v_lshrrev_b64 v[0:1], 24, v[2:3]
	v_cndmask_b32_e64 v1, v20, v6, s76
	v_cndmask_b32_e64 v3, v3, v6, s78
	;; [unrolled: 1-line block ×7, first 2 shown]
	s_delay_alu instid0(VALU_DEP_4) | instskip(NEXT) | instid1(VALU_DEP_1)
	v_cndmask_b32_e64 v2, v2, v1, s21
	v_cndmask_b32_e64 v2, v2, v0, s20
	s_delay_alu instid0(VALU_DEP_1) | instskip(NEXT) | instid1(VALU_DEP_1)
	v_cndmask_b32_e64 v2, v2, v3, s19
	v_cndmask_b32_e64 v2, v2, v20, s18
	s_delay_alu instid0(VALU_DEP_1) | instskip(NEXT) | instid1(VALU_DEP_1)
	v_cndmask_b32_e64 v2, v2, v21, s16
	v_cndmask_b32_e64 v2, v2, v6, s14
	s_delay_alu instid0(VALU_DEP_1)
	v_and_b32_e32 v2, 0xff, v2
	ds_swizzle_b32 v2, v2 offset:swizzle(SWAP,8)
	s_waitcnt lgkmcnt(0)
	v_cndmask_b32_e64 v7, v7, v2, s43
	v_cndmask_b32_e64 v15, v15, v2, s55
	;; [unrolled: 1-line block ×19, first 2 shown]
	v_cmp_eq_u32_e64 s14, 15, v13
	s_delay_alu instid0(VALU_DEP_4) | instskip(NEXT) | instid1(VALU_DEP_1)
	v_cndmask_b32_e64 v22, v22, v14, s60
	v_cndmask_b32_e64 v22, v22, v16, s59
	s_delay_alu instid0(VALU_DEP_1) | instskip(NEXT) | instid1(VALU_DEP_1)
	v_cndmask_b32_e64 v22, v22, v17, s58
	v_cndmask_b32_e64 v22, v22, v18, s56
	s_delay_alu instid0(VALU_DEP_1) | instskip(NEXT) | instid1(VALU_DEP_1)
	;; [unrolled: 3-line block ×5, first 2 shown]
	v_cndmask_b32_e64 v6, v22, v21, s50
	v_cndmask_b32_e64 v6, v6, v2, s54
	s_delay_alu instid0(VALU_DEP_1)
	v_and_b32_e32 v6, 0xff, v6
	ds_swizzle_b32 v6, v6 offset:swizzle(SWAP,8)
	s_waitcnt lgkmcnt(0)
	v_cndmask_b32_e64 v7, v7, v6, s63
	v_cndmask_b32_e64 v15, v15, v6, s65
	v_cndmask_b32_e64 v5, v5, v6, s62
	v_cndmask_b32_e64 v4, v4, v6, s61
	v_cndmask_b32_e64 v14, v14, v6, s60
	v_cndmask_b32_e64 v16, v16, v6, s59
	v_cndmask_b32_e64 v22, v15, v7, s27
	v_cndmask_b32_e64 v17, v17, v6, s58
	v_cndmask_b32_e64 v18, v18, v6, s56
	v_cndmask_b32_e64 v23, v23, v6, s53
	v_cndmask_b32_e64 v19, v19, v6, s51
	v_cndmask_b32_e64 v22, v22, v5, s30
	v_cndmask_b32_e64 v1, v1, v6, s48
	v_cndmask_b32_e64 v0, v0, v6, s49
	v_cndmask_b32_e64 v3, v3, v6, s47
	v_cndmask_b32_e64 v20, v20, v6, s52
	v_cndmask_b32_e64 v22, v22, v4, s28
	v_cndmask_b32_e64 v21, v21, v6, s50
	v_cndmask_b32_e64 v2, v2, v6, s54
	s_delay_alu instid0(VALU_DEP_3) | instskip(NEXT) | instid1(VALU_DEP_1)
	v_cndmask_b32_e64 v22, v22, v14, s34
	v_cndmask_b32_e64 v22, v22, v16, s31
	s_delay_alu instid0(VALU_DEP_1) | instskip(NEXT) | instid1(VALU_DEP_1)
	v_cndmask_b32_e64 v22, v22, v17, s39
	v_cndmask_b32_e64 v22, v22, v18, s35
	s_delay_alu instid0(VALU_DEP_1) | instskip(NEXT) | instid1(VALU_DEP_1)
	;; [unrolled: 3-line block ×5, first 2 shown]
	v_cndmask_b32_e64 v6, v22, v21, s42
	v_cndmask_b32_e64 v6, v6, v2, s46
	s_delay_alu instid0(VALU_DEP_1)
	v_and_b32_e32 v6, 0xff, v6
	ds_swizzle_b32 v6, v6 offset:swizzle(SWAP,8)
	s_waitcnt lgkmcnt(0)
	v_cndmask_b32_e64 v7, v7, v6, s27
	v_cndmask_b32_e64 v15, v15, v6, s64
	;; [unrolled: 1-line block ×19, first 2 shown]
	s_delay_alu instid0(VALU_DEP_3) | instskip(NEXT) | instid1(VALU_DEP_1)
	v_cndmask_b32_e64 v22, v22, v14, s13
	v_cndmask_b32_e64 v22, v22, v16, s9
	s_delay_alu instid0(VALU_DEP_1) | instskip(NEXT) | instid1(VALU_DEP_1)
	v_cndmask_b32_e64 v22, v22, v17, s11
	v_cndmask_b32_e64 v22, v22, v18, s7
	s_delay_alu instid0(VALU_DEP_1) | instskip(NEXT) | instid1(VALU_DEP_1)
	;; [unrolled: 3-line block ×5, first 2 shown]
	v_cndmask_b32_e64 v6, v22, v21, s2
	v_cndmask_b32_e64 v6, v6, v2, s1
	s_delay_alu instid0(VALU_DEP_1)
	v_and_b32_e32 v6, 0xff, v6
	ds_swizzle_b32 v6, v6 offset:swizzle(SWAP,8)
	s_waitcnt lgkmcnt(0)
	v_cndmask_b32_e64 v7, v7, v6, s17
	v_cndmask_b32_e64 v15, v15, v6, s57
	;; [unrolled: 1-line block ×4, first 2 shown]
	v_cmp_eq_u32_e64 s12, 2, v13
	v_cndmask_b32_e64 v14, v14, v6, s13
	v_cndmask_b32_e32 v22, v15, v7, vcc_lo
	v_cmp_eq_u32_e64 s13, 3, v13
	v_cndmask_b32_e64 v16, v16, v6, s9
	v_cmp_eq_u32_e64 s9, 4, v13
	v_cndmask_b32_e64 v17, v17, v6, s11
	v_cndmask_b32_e64 v22, v22, v5, s12
	v_cmp_eq_u32_e64 s11, 5, v13
	v_cndmask_b32_e64 v18, v18, v6, s7
	v_cmp_eq_u32_e64 s7, 6, v13
	v_cndmask_b32_e64 v23, v23, v6, s10
	v_cndmask_b32_e64 v22, v22, v4, s13
	;; [unrolled: 5-line block ×5, first 2 shown]
	v_cmp_eq_u32_e64 s2, 13, v13
	v_cndmask_b32_e64 v2, v2, v6, s1
	v_cmp_eq_u32_e64 s1, 14, v13
	s_delay_alu instid0(VALU_DEP_4) | instskip(NEXT) | instid1(VALU_DEP_1)
	v_cndmask_b32_e64 v22, v22, v18, s10
	v_cndmask_b32_e64 v22, v22, v23, s6
	s_delay_alu instid0(VALU_DEP_1) | instskip(NEXT) | instid1(VALU_DEP_1)
	v_cndmask_b32_e64 v22, v22, v19, s8
	v_cndmask_b32_e64 v22, v22, v1, s5
	s_delay_alu instid0(VALU_DEP_1) | instskip(NEXT) | instid1(VALU_DEP_1)
	;; [unrolled: 3-line block ×4, first 2 shown]
	v_cndmask_b32_e64 v6, v6, v2, s14
	v_and_b32_e32 v6, 0xff, v6
	ds_swizzle_b32 v6, v6 offset:swizzle(SWAP,8)
	s_waitcnt lgkmcnt(0)
	v_cndmask_b32_e32 v7, v7, v6, vcc_lo
	v_cmp_eq_u32_e32 vcc_lo, 0, v13
	v_cndmask_b32_e64 v5, v5, v6, s12
	v_cmp_eq_u32_e64 s12, 2, v12
	v_cndmask_b32_e64 v4, v4, v6, s13
	v_cndmask_b32_e64 v14, v14, v6, s9
	v_cndmask_b32_e32 v13, v15, v6, vcc_lo
	v_cmp_eq_u32_e32 vcc_lo, 1, v12
	v_cmp_eq_u32_e64 s9, 3, v12
	v_cndmask_b32_e64 v16, v16, v6, s11
	v_cmp_eq_u32_e64 s11, 4, v12
	v_cndmask_b32_e64 v17, v17, v6, s7
	v_cndmask_b32_e32 v15, v13, v7, vcc_lo
	v_cmp_eq_u32_e64 s7, 5, v12
	v_cndmask_b32_e64 v18, v18, v6, s10
	v_cmp_eq_u32_e64 s10, 6, v12
	v_cndmask_b32_e64 v22, v23, v6, s6
	v_cndmask_b32_e64 v15, v15, v5, s12
	v_cmp_eq_u32_e64 s6, 7, v12
	v_cndmask_b32_e64 v19, v19, v6, s8
	v_cmp_eq_u32_e64 s8, 8, v12
	v_cndmask_b32_e64 v1, v1, v6, s5
	v_cndmask_b32_e64 v15, v15, v4, s9
	;; [unrolled: 5-line block ×4, first 2 shown]
	v_cmp_eq_u32_e64 s1, 13, v12
	v_cmp_eq_u32_e64 s13, 14, v12
	v_cndmask_b32_e64 v2, v2, v6, s14
	v_cmp_eq_u32_e64 s14, 15, v12
	v_cndmask_b32_e64 v15, v15, v17, s10
	s_delay_alu instid0(VALU_DEP_1) | instskip(NEXT) | instid1(VALU_DEP_1)
	v_cndmask_b32_e64 v15, v15, v18, s6
	v_cndmask_b32_e64 v15, v15, v22, s8
	s_delay_alu instid0(VALU_DEP_1) | instskip(NEXT) | instid1(VALU_DEP_1)
	v_cndmask_b32_e64 v15, v15, v19, s5
	;; [unrolled: 3-line block ×5, first 2 shown]
	v_and_b32_e32 v6, 0xff, v6
	ds_swizzle_b32 v6, v6 offset:swizzle(SWAP,8)
	s_waitcnt lgkmcnt(0)
	v_cndmask_b32_e32 v7, v7, v6, vcc_lo
	v_cmp_eq_u32_e32 vcc_lo, 0, v12
	v_cndmask_b32_e64 v5, v5, v6, s12
	v_cndmask_b32_e64 v4, v4, v6, s9
	v_cmp_eq_u32_e64 s9, 2, v11
	v_cndmask_b32_e64 v14, v14, v6, s11
	v_cndmask_b32_e32 v12, v13, v6, vcc_lo
	v_cmp_eq_u32_e32 vcc_lo, 1, v11
	v_cmp_eq_u32_e64 s11, 3, v11
	v_cndmask_b32_e64 v15, v16, v6, s7
	v_cmp_eq_u32_e64 s7, 4, v11
	v_cndmask_b32_e64 v16, v17, v6, s10
	v_cndmask_b32_e32 v13, v12, v7, vcc_lo
	v_cmp_eq_u32_e64 s10, 5, v11
	v_cndmask_b32_e64 v17, v18, v6, s6
	v_cmp_eq_u32_e64 s6, 6, v11
	v_cndmask_b32_e64 v18, v22, v6, s8
	v_cndmask_b32_e64 v13, v13, v5, s9
	v_cmp_eq_u32_e64 s8, 7, v11
	v_cndmask_b32_e64 v19, v19, v6, s5
	v_cmp_eq_u32_e64 s5, 8, v11
	v_cndmask_b32_e64 v1, v1, v6, s3
	v_cndmask_b32_e64 v13, v13, v4, s11
	v_cmp_eq_u32_e64 s3, 9, v11
	v_cndmask_b32_e64 v0, v0, v6, s4
	v_cmp_eq_u32_e64 s4, 10, v11
	v_cndmask_b32_e64 v3, v3, v6, s2
	v_cndmask_b32_e64 v13, v13, v14, s7
	v_cmp_eq_u32_e64 s2, 11, v11
	v_cndmask_b32_e64 v20, v20, v6, s1
	v_cmp_eq_u32_e64 s1, 12, v11
	v_cmp_eq_u32_e64 s12, 13, v11
	v_cndmask_b32_e64 v13, v13, v15, s10
	v_cndmask_b32_e64 v21, v21, v6, s13
	v_cmp_eq_u32_e64 s13, 14, v11
	v_cndmask_b32_e64 v2, v2, v6, s14
	v_cmp_eq_u32_e64 s14, 15, v11
	v_cndmask_b32_e64 v13, v13, v16, s6
	s_delay_alu instid0(VALU_DEP_1) | instskip(NEXT) | instid1(VALU_DEP_1)
	v_cndmask_b32_e64 v13, v13, v17, s8
	v_cndmask_b32_e64 v13, v13, v18, s5
	s_delay_alu instid0(VALU_DEP_1) | instskip(NEXT) | instid1(VALU_DEP_1)
	v_cndmask_b32_e64 v13, v13, v19, s3
	;; [unrolled: 3-line block ×4, first 2 shown]
	v_cndmask_b32_e64 v6, v13, v21, s13
	v_xor_b32_e32 v13, 4, v10
	s_delay_alu instid0(VALU_DEP_2) | instskip(NEXT) | instid1(VALU_DEP_1)
	v_cndmask_b32_e64 v6, v6, v2, s14
	v_and_b32_e32 v6, 0xff, v6
	ds_swizzle_b32 v6, v6 offset:swizzle(SWAP,8)
	s_waitcnt lgkmcnt(0)
	v_cndmask_b32_e32 v7, v7, v6, vcc_lo
	v_cmp_eq_u32_e32 vcc_lo, 0, v11
	v_cndmask_b32_e64 v5, v5, v6, s9
	v_cmp_eq_u32_e64 s9, 2, v13
	v_cndmask_b32_e64 v4, v4, v6, s11
	v_cndmask_b32_e64 v14, v14, v6, s7
	v_cndmask_b32_e32 v11, v12, v6, vcc_lo
	v_cmp_eq_u32_e32 vcc_lo, 1, v13
	v_cmp_eq_u32_e64 s7, 3, v13
	v_cndmask_b32_e64 v15, v15, v6, s10
	v_cmp_eq_u32_e64 s10, 4, v13
	v_cndmask_b32_e64 v16, v16, v6, s6
	v_cndmask_b32_e32 v12, v11, v7, vcc_lo
	v_cmp_eq_u32_e64 s6, 5, v13
	v_cndmask_b32_e64 v17, v17, v6, s8
	v_cmp_eq_u32_e64 s8, 6, v13
	v_cndmask_b32_e64 v18, v18, v6, s5
	v_cndmask_b32_e64 v12, v12, v5, s9
	v_cmp_eq_u32_e64 s5, 7, v13
	v_cndmask_b32_e64 v19, v19, v6, s3
	v_cmp_eq_u32_e64 s3, 8, v13
	v_cndmask_b32_e64 v1, v1, v6, s4
	v_cndmask_b32_e64 v12, v12, v4, s7
	;; [unrolled: 5-line block ×3, first 2 shown]
	v_cmp_eq_u32_e64 s1, 11, v13
	v_cmp_eq_u32_e64 s11, 12, v13
	v_cndmask_b32_e64 v20, v20, v6, s12
	v_cmp_eq_u32_e64 s12, 13, v13
	v_cndmask_b32_e64 v12, v12, v15, s6
	v_cndmask_b32_e64 v21, v21, v6, s13
	v_cmp_eq_u32_e64 s13, 14, v13
	v_cndmask_b32_e64 v2, v2, v6, s14
	v_cmp_eq_u32_e64 s14, 15, v13
	v_cndmask_b32_e64 v12, v12, v16, s8
	s_delay_alu instid0(VALU_DEP_1) | instskip(NEXT) | instid1(VALU_DEP_1)
	v_cndmask_b32_e64 v12, v12, v17, s5
	v_cndmask_b32_e64 v12, v12, v18, s3
	s_delay_alu instid0(VALU_DEP_1) | instskip(NEXT) | instid1(VALU_DEP_1)
	v_cndmask_b32_e64 v12, v12, v19, s4
	;; [unrolled: 3-line block ×5, first 2 shown]
	v_and_b32_e32 v6, 0xff, v6
	ds_swizzle_b32 v6, v6 offset:swizzle(SWAP,4)
	s_waitcnt lgkmcnt(0)
	v_cndmask_b32_e32 v7, v7, v6, vcc_lo
	v_cmp_eq_u32_e32 vcc_lo, 0, v13
	v_cndmask_b32_e64 v5, v5, v6, s9
	v_cndmask_b32_e64 v4, v4, v6, s7
	;; [unrolled: 1-line block ×4, first 2 shown]
	v_cndmask_b32_e32 v11, v11, v6, vcc_lo
	v_cmp_eq_u32_e32 vcc_lo, 0, v10
	v_cndmask_b32_e64 v15, v16, v6, s8
	v_cndmask_b32_e64 v16, v17, v6, s5
	;; [unrolled: 1-line block ×4, first 2 shown]
	v_cndmask_b32_e64 v10, 1, 5, vcc_lo
	v_cndmask_b32_e64 v18, v19, v6, s4
	v_cndmask_b32_e64 v1, v1, v6, s2
	;; [unrolled: 1-line block ×4, first 2 shown]
	v_cmp_eq_u32_e64 s7, 2, v10
	v_cmp_eq_u32_e64 s9, 3, v10
	;; [unrolled: 1-line block ×5, first 2 shown]
	v_cndmask_b32_e64 v12, v12, v5, s7
	v_cmp_eq_u32_e64 s4, 8, v10
	v_cmp_eq_u32_e64 s2, 9, v10
	;; [unrolled: 1-line block ×4, first 2 shown]
	v_cndmask_b32_e64 v12, v12, v4, s9
	v_cmp_eq_u32_e64 s10, 12, v10
	v_cndmask_b32_e64 v19, v20, v6, s12
	v_cmp_eq_u32_e64 s11, 13, v10
	v_cndmask_b32_e64 v20, v21, v6, s13
	v_cndmask_b32_e64 v12, v12, v13, s6
	v_cmp_eq_u32_e64 s12, 14, v10
	v_cndmask_b32_e64 v2, v2, v6, s14
	v_cmp_eq_u32_e64 s13, 15, v10
	v_cmp_eq_u32_e64 s14, 0, v10
	v_cndmask_b32_e32 v12, v12, v14, vcc_lo
	s_delay_alu instid0(VALU_DEP_1) | instskip(NEXT) | instid1(VALU_DEP_1)
	v_cndmask_b32_e64 v12, v12, v15, s5
	v_cndmask_b32_e64 v12, v12, v16, s3
	s_delay_alu instid0(VALU_DEP_1) | instskip(NEXT) | instid1(VALU_DEP_1)
	v_cndmask_b32_e64 v12, v12, v17, s4
	v_cndmask_b32_e64 v12, v12, v18, s2
	;; [unrolled: 3-line block ×4, first 2 shown]
	s_delay_alu instid0(VALU_DEP_1) | instskip(SKIP_1) | instid1(VALU_DEP_2)
	v_cndmask_b32_e64 v6, v12, v20, s12
	v_cndmask_b32_e64 v12, 2, 6, vcc_lo
	v_cndmask_b32_e64 v6, v6, v2, s13
	s_delay_alu instid0(VALU_DEP_1)
	v_and_b32_e32 v6, 0xff, v6
	ds_swizzle_b32 v6, v6 offset:swizzle(SWAP,4)
	s_waitcnt lgkmcnt(0)
	v_cndmask_b32_e64 v7, v7, v6, s0
	v_cndmask_b32_e64 v10, v11, v6, s14
	;; [unrolled: 1-line block ×3, first 2 shown]
	v_cmp_eq_u32_e64 s7, 1, v12
	v_cndmask_b32_e64 v4, v4, v6, s9
	v_cndmask_b32_e64 v13, v13, v6, s6
	v_cmp_eq_u32_e64 s6, 3, v12
	v_cmp_eq_u32_e64 s9, 4, v12
	v_cndmask_b32_e64 v11, v10, v7, s7
	v_cndmask_b32_e32 v14, v14, v6, vcc_lo
	v_cndmask_b32_e64 v15, v15, v6, s5
	v_cmp_eq_u32_e64 s5, 5, v12
	v_cndmask_b32_e64 v16, v16, v6, s3
	v_cndmask_b32_e64 v11, v11, v5, s0
	v_cmp_eq_u32_e64 s3, 7, v12
	v_cndmask_b32_e64 v17, v17, v6, s4
	;; [unrolled: 3-line block ×3, first 2 shown]
	v_cndmask_b32_e64 v1, v1, v6, s1
	v_cmp_eq_u32_e64 s1, 9, v12
	v_cmp_eq_u32_e64 s4, 10, v12
	v_cndmask_b32_e64 v0, v0, v6, s8
	v_cndmask_b32_e64 v11, v11, v13, s9
	v_cmp_eq_u32_e64 s8, 11, v12
	v_cndmask_b32_e64 v3, v3, v6, s10
	v_cmp_eq_u32_e64 s10, 12, v12
	v_cndmask_b32_e64 v19, v19, v6, s11
	v_cndmask_b32_e64 v11, v11, v14, s5
	v_cmp_eq_u32_e64 s11, 13, v12
	v_cndmask_b32_e64 v20, v20, v6, s12
	v_cmp_eq_u32_e64 s12, 14, v12
	v_cndmask_b32_e64 v2, v2, v6, s13
	v_cndmask_b32_e32 v11, v11, v15, vcc_lo
	v_cmp_eq_u32_e64 s13, 15, v12
	s_delay_alu instid0(VALU_DEP_2) | instskip(NEXT) | instid1(VALU_DEP_1)
	v_cndmask_b32_e64 v11, v11, v16, s3
	v_cndmask_b32_e64 v11, v11, v17, s2
	s_delay_alu instid0(VALU_DEP_1) | instskip(NEXT) | instid1(VALU_DEP_1)
	v_cndmask_b32_e64 v11, v11, v18, s1
	v_cndmask_b32_e64 v11, v11, v1, s4
	s_delay_alu instid0(VALU_DEP_1) | instskip(NEXT) | instid1(VALU_DEP_1)
	;; [unrolled: 3-line block ×3, first 2 shown]
	v_cndmask_b32_e64 v11, v11, v19, s11
	v_cndmask_b32_e64 v6, v11, v20, s12
	v_cndmask_b32_e64 v11, 3, 7, vcc_lo
	s_delay_alu instid0(VALU_DEP_2) | instskip(NEXT) | instid1(VALU_DEP_1)
	v_cndmask_b32_e64 v6, v6, v2, s13
	v_and_b32_e32 v6, 0xff, v6
	ds_swizzle_b32 v6, v6 offset:swizzle(SWAP,4)
	s_waitcnt lgkmcnt(0)
	v_cndmask_b32_e64 v7, v7, v6, s7
	v_cmp_eq_u32_e64 s7, 0, v12
	v_cndmask_b32_e64 v5, v5, v6, s0
	v_cndmask_b32_e64 v4, v4, v6, s6
	v_cmp_eq_u32_e64 s6, 2, v11
	v_cndmask_b32_e64 v13, v13, v6, s9
	v_cndmask_b32_e64 v10, v10, v6, s7
	v_cmp_eq_u32_e64 s7, 1, v11
	v_cndmask_b32_e64 v14, v14, v6, s5
	v_cmp_eq_u32_e64 s5, 4, v11
	v_cmp_eq_u32_e64 s9, 5, v11
	v_cndmask_b32_e32 v15, v15, v6, vcc_lo
	v_cndmask_b32_e64 v12, v10, v7, s7
	v_cndmask_b32_e64 v16, v16, v6, s3
	v_cmp_eq_u32_e64 s3, 6, v11
	v_cndmask_b32_e64 v17, v17, v6, s2
	v_cndmask_b32_e64 v18, v18, v6, s1
	;; [unrolled: 1-line block ×3, first 2 shown]
	v_cmp_eq_u32_e64 s1, 8, v11
	v_cmp_eq_u32_e64 s2, 9, v11
	v_cndmask_b32_e64 v1, v1, v6, s4
	v_cmp_eq_u32_e64 s4, 10, v11
	v_cndmask_b32_e64 v12, v12, v4, s0
	v_cndmask_b32_e64 v0, v0, v6, s8
	v_cmp_eq_u32_e64 s8, 11, v11
	v_cndmask_b32_e64 v3, v3, v6, s10
	v_cmp_eq_u32_e64 s10, 12, v11
	v_cndmask_b32_e64 v12, v12, v13, s5
	v_cndmask_b32_e64 v19, v19, v6, s11
	v_cmp_eq_u32_e64 s11, 13, v11
	v_cndmask_b32_e64 v20, v20, v6, s12
	v_cmp_eq_u32_e64 s12, 14, v11
	v_cndmask_b32_e64 v12, v12, v14, s9
	v_cndmask_b32_e64 v2, v2, v6, s13
	v_cmp_eq_u32_e64 s13, 15, v11
	s_delay_alu instid0(VALU_DEP_3) | instskip(NEXT) | instid1(VALU_DEP_1)
	v_cndmask_b32_e64 v12, v12, v15, s3
	v_cndmask_b32_e32 v12, v12, v16, vcc_lo
	s_delay_alu instid0(VALU_DEP_1) | instskip(NEXT) | instid1(VALU_DEP_1)
	v_cndmask_b32_e64 v12, v12, v17, s1
	v_cndmask_b32_e64 v12, v12, v18, s2
	s_delay_alu instid0(VALU_DEP_1) | instskip(NEXT) | instid1(VALU_DEP_1)
	v_cndmask_b32_e64 v12, v12, v1, s4
	v_cndmask_b32_e64 v12, v12, v0, s8
	;; [unrolled: 3-line block ×3, first 2 shown]
	s_delay_alu instid0(VALU_DEP_1) | instskip(SKIP_1) | instid1(VALU_DEP_2)
	v_cndmask_b32_e64 v6, v12, v20, s12
	v_cndmask_b32_e64 v12, 8, 12, vcc_lo
	v_cndmask_b32_e64 v6, v6, v2, s13
	s_delay_alu instid0(VALU_DEP_2) | instskip(NEXT) | instid1(VALU_DEP_2)
	v_cmp_eq_u32_e64 s14, 6, v12
	v_and_b32_e32 v6, 0xff, v6
	ds_swizzle_b32 v6, v6 offset:swizzle(SWAP,4)
	s_waitcnt lgkmcnt(0)
	v_cndmask_b32_e64 v7, v7, v6, s7
	v_cmp_eq_u32_e64 s7, 0, v11
	v_cndmask_b32_e64 v5, v5, v6, s6
	v_cmp_eq_u32_e64 s6, 1, v12
	v_cndmask_b32_e64 v4, v4, v6, s0
	v_cndmask_b32_e64 v13, v13, v6, s5
	;; [unrolled: 1-line block ×3, first 2 shown]
	v_cmp_eq_u32_e64 s7, 2, v12
	v_cmp_eq_u32_e64 s5, 3, v12
	v_cndmask_b32_e64 v14, v14, v6, s9
	v_cmp_eq_u32_e64 s9, 4, v12
	v_cndmask_b32_e64 v11, v10, v7, s6
	v_cndmask_b32_e64 v15, v15, v6, s3
	v_cmp_eq_u32_e64 s3, 5, v12
	v_cndmask_b32_e32 v16, v16, v6, vcc_lo
	v_cndmask_b32_e64 v17, v17, v6, s1
	v_cndmask_b32_e64 v11, v11, v5, s7
	v_cmp_eq_u32_e64 s1, 7, v12
	v_cndmask_b32_e64 v18, v18, v6, s2
	v_cmp_eq_u32_e64 s2, 9, v12
	v_cndmask_b32_e64 v1, v1, v6, s4
	v_cndmask_b32_e64 v11, v11, v4, s5
	v_cmp_eq_u32_e64 s4, 10, v12
	v_cndmask_b32_e64 v0, v0, v6, s8
	v_cmp_eq_u32_e64 s8, 11, v12
	v_cndmask_b32_e64 v3, v3, v6, s10
	v_cndmask_b32_e64 v11, v11, v13, s9
	;; [unrolled: 1-line block ×3, first 2 shown]
	v_cmp_eq_u32_e64 s10, 13, v12
	v_cndmask_b32_e64 v20, v20, v6, s12
	v_cmp_eq_u32_e64 s11, 14, v12
	v_cndmask_b32_e64 v11, v11, v14, s3
	v_cndmask_b32_e64 v2, v2, v6, s13
	v_cmp_eq_u32_e64 s12, 15, v12
	s_delay_alu instid0(VALU_DEP_3) | instskip(NEXT) | instid1(VALU_DEP_1)
	v_cndmask_b32_e64 v11, v11, v15, s14
	v_cndmask_b32_e64 v11, v11, v16, s1
	s_delay_alu instid0(VALU_DEP_1) | instskip(NEXT) | instid1(VALU_DEP_1)
	v_cndmask_b32_e64 v11, v11, v17, s0
	v_cndmask_b32_e64 v11, v11, v18, s2
	s_delay_alu instid0(VALU_DEP_1) | instskip(NEXT) | instid1(VALU_DEP_1)
	;; [unrolled: 3-line block ×3, first 2 shown]
	v_cndmask_b32_e32 v11, v11, v3, vcc_lo
	v_cndmask_b32_e64 v11, v11, v19, s10
	s_delay_alu instid0(VALU_DEP_1) | instskip(SKIP_1) | instid1(VALU_DEP_2)
	v_cndmask_b32_e64 v6, v11, v20, s11
	v_cndmask_b32_e64 v11, 9, 13, vcc_lo
	v_cndmask_b32_e64 v6, v6, v2, s12
	s_delay_alu instid0(VALU_DEP_2) | instskip(NEXT) | instid1(VALU_DEP_2)
	v_cmp_eq_u32_e64 s13, 7, v11
	v_and_b32_e32 v6, 0xff, v6
	ds_swizzle_b32 v6, v6 offset:swizzle(SWAP,4)
	s_waitcnt lgkmcnt(0)
	v_cndmask_b32_e64 v7, v7, v6, s6
	v_cmp_eq_u32_e64 s6, 0, v12
	v_cndmask_b32_e64 v5, v5, v6, s7
	v_cndmask_b32_e64 v4, v4, v6, s5
	v_cmp_eq_u32_e64 s5, 2, v11
	v_cmp_eq_u32_e64 s7, 3, v11
	v_cndmask_b32_e64 v10, v10, v6, s6
	v_cmp_eq_u32_e64 s6, 1, v11
	v_cndmask_b32_e64 v13, v13, v6, s9
	v_cndmask_b32_e64 v14, v14, v6, s3
	v_cmp_eq_u32_e64 s3, 4, v11
	v_cmp_eq_u32_e64 s9, 5, v11
	v_cndmask_b32_e64 v12, v10, v7, s6
	v_cndmask_b32_e64 v15, v15, v6, s14
	;; [unrolled: 1-line block ×3, first 2 shown]
	v_cmp_eq_u32_e64 s1, 6, v11
	v_cndmask_b32_e64 v17, v17, v6, s0
	v_cndmask_b32_e64 v12, v12, v5, s5
	;; [unrolled: 1-line block ×3, first 2 shown]
	v_cmp_eq_u32_e64 s2, 8, v11
	v_cndmask_b32_e64 v1, v1, v6, s4
	v_cmp_eq_u32_e64 s4, 10, v11
	v_cndmask_b32_e64 v12, v12, v4, s7
	v_cndmask_b32_e64 v0, v0, v6, s8
	v_cmp_eq_u32_e64 s8, 11, v11
	v_cndmask_b32_e32 v3, v3, v6, vcc_lo
	v_cndmask_b32_e64 v19, v19, v6, s10
	v_cndmask_b32_e64 v12, v12, v13, s3
	v_cmp_eq_u32_e64 s10, 12, v11
	v_cndmask_b32_e64 v20, v20, v6, s11
	v_cmp_eq_u32_e64 s11, 14, v11
	v_cndmask_b32_e64 v2, v2, v6, s12
	v_cndmask_b32_e64 v12, v12, v14, s9
	v_cmp_eq_u32_e64 s12, 15, v11
	s_delay_alu instid0(VALU_DEP_2) | instskip(NEXT) | instid1(VALU_DEP_1)
	v_cndmask_b32_e64 v12, v12, v15, s1
	v_cndmask_b32_e64 v12, v12, v16, s13
	s_delay_alu instid0(VALU_DEP_1) | instskip(NEXT) | instid1(VALU_DEP_1)
	v_cndmask_b32_e64 v12, v12, v17, s2
	v_cndmask_b32_e64 v12, v12, v18, s0
	s_delay_alu instid0(VALU_DEP_1) | instskip(NEXT) | instid1(VALU_DEP_1)
	;; [unrolled: 3-line block ×3, first 2 shown]
	v_cndmask_b32_e64 v12, v12, v3, s10
	v_cndmask_b32_e32 v12, v12, v19, vcc_lo
	s_delay_alu instid0(VALU_DEP_1) | instskip(SKIP_1) | instid1(VALU_DEP_2)
	v_cndmask_b32_e64 v6, v12, v20, s11
	v_cndmask_b32_e64 v12, 10, 14, vcc_lo
	v_cndmask_b32_e64 v6, v6, v2, s12
	s_delay_alu instid0(VALU_DEP_1)
	v_and_b32_e32 v6, 0xff, v6
	ds_swizzle_b32 v6, v6 offset:swizzle(SWAP,4)
	s_waitcnt lgkmcnt(0)
	v_cndmask_b32_e64 v7, v7, v6, s6
	v_cmp_eq_u32_e64 s6, 0, v11
	v_cndmask_b32_e64 v5, v5, v6, s5
	v_cmp_eq_u32_e64 s5, 1, v12
	v_cndmask_b32_e64 v4, v4, v6, s7
	v_cndmask_b32_e64 v13, v13, v6, s3
	;; [unrolled: 1-line block ×3, first 2 shown]
	v_cmp_eq_u32_e64 s6, 2, v12
	v_cmp_eq_u32_e64 s3, 3, v12
	;; [unrolled: 1-line block ×3, first 2 shown]
	v_cndmask_b32_e64 v14, v14, v6, s9
	v_cndmask_b32_e64 v11, v10, v7, s5
	;; [unrolled: 1-line block ×3, first 2 shown]
	v_cmp_eq_u32_e64 s1, 5, v12
	v_cmp_eq_u32_e64 s9, 6, v12
	v_cndmask_b32_e64 v16, v16, v6, s13
	v_cndmask_b32_e64 v11, v11, v5, s6
	;; [unrolled: 1-line block ×3, first 2 shown]
	v_cmp_eq_u32_e64 s2, 7, v12
	v_cmp_eq_u32_e64 s13, 8, v12
	v_cndmask_b32_e64 v18, v18, v6, s0
	v_cndmask_b32_e64 v11, v11, v4, s3
	;; [unrolled: 1-line block ×3, first 2 shown]
	v_cmp_eq_u32_e64 s4, 9, v12
	v_cndmask_b32_e64 v0, v0, v6, s8
	v_cmp_eq_u32_e64 s8, 11, v12
	v_cndmask_b32_e64 v11, v11, v13, s7
	v_cndmask_b32_e64 v3, v3, v6, s10
	v_cmp_eq_u32_e64 s10, 12, v12
	v_cndmask_b32_e32 v19, v19, v6, vcc_lo
	v_cndmask_b32_e64 v20, v20, v6, s11
	v_cndmask_b32_e64 v11, v11, v14, s1
	v_cmp_eq_u32_e64 s11, 13, v12
	v_cndmask_b32_e64 v2, v2, v6, s12
	v_cmp_eq_u32_e64 s12, 15, v12
	s_delay_alu instid0(VALU_DEP_4) | instskip(NEXT) | instid1(VALU_DEP_1)
	v_cndmask_b32_e64 v11, v11, v15, s9
	v_cndmask_b32_e64 v11, v11, v16, s2
	s_delay_alu instid0(VALU_DEP_1) | instskip(NEXT) | instid1(VALU_DEP_1)
	v_cndmask_b32_e64 v11, v11, v17, s13
	v_cndmask_b32_e64 v11, v11, v18, s4
	s_delay_alu instid0(VALU_DEP_1) | instskip(NEXT) | instid1(VALU_DEP_1)
	;; [unrolled: 3-line block ×3, first 2 shown]
	v_cndmask_b32_e64 v11, v11, v3, s10
	v_cndmask_b32_e64 v11, v11, v19, s11
	s_delay_alu instid0(VALU_DEP_1) | instskip(SKIP_1) | instid1(VALU_DEP_2)
	v_cndmask_b32_e32 v6, v11, v20, vcc_lo
	v_cndmask_b32_e64 v11, 11, 15, vcc_lo
	v_cndmask_b32_e64 v6, v6, v2, s12
	s_delay_alu instid0(VALU_DEP_1)
	v_and_b32_e32 v6, 0xff, v6
	ds_swizzle_b32 v6, v6 offset:swizzle(SWAP,4)
	s_waitcnt lgkmcnt(0)
	v_cndmask_b32_e64 v7, v7, v6, s5
	v_cmp_eq_u32_e64 s5, 0, v12
	v_cndmask_b32_e64 v5, v5, v6, s6
	v_cndmask_b32_e64 v4, v4, v6, s3
	v_cmp_eq_u32_e64 s3, 2, v11
	v_cmp_eq_u32_e64 s6, 3, v11
	v_cndmask_b32_e64 v10, v10, v6, s5
	v_cmp_eq_u32_e64 s5, 1, v11
	v_cndmask_b32_e64 v13, v13, v6, s7
	v_cndmask_b32_e64 v14, v14, v6, s1
	v_cmp_eq_u32_e64 s1, 4, v11
	v_cmp_eq_u32_e64 s7, 5, v11
	v_cndmask_b32_e64 v12, v10, v7, s5
	v_cndmask_b32_e64 v15, v15, v6, s9
	v_cndmask_b32_e64 v16, v16, v6, s2
	v_cmp_eq_u32_e64 s2, 6, v11
	v_cmp_eq_u32_e64 s9, 7, v11
	v_cndmask_b32_e64 v12, v12, v5, s3
	;; [unrolled: 5-line block ×3, first 2 shown]
	v_cndmask_b32_e64 v1, v1, v6, s0
	v_cndmask_b32_e64 v0, v0, v6, s8
	v_cmp_eq_u32_e64 s8, 10, v11
	v_cndmask_b32_e64 v3, v3, v6, s10
	v_cndmask_b32_e64 v12, v12, v13, s1
	v_cmp_eq_u32_e64 s10, 12, v11
	v_cndmask_b32_e64 v19, v19, v6, s11
	v_cmp_eq_u32_e64 s11, 13, v11
	v_cndmask_b32_e32 v20, v20, v6, vcc_lo
	v_cndmask_b32_e64 v12, v12, v14, s7
	v_cndmask_b32_e64 v2, v2, v6, s12
	v_cmp_eq_u32_e64 s12, 14, v11
	s_delay_alu instid0(VALU_DEP_3) | instskip(NEXT) | instid1(VALU_DEP_1)
	v_cndmask_b32_e64 v12, v12, v15, s2
	v_cndmask_b32_e64 v12, v12, v16, s9
	s_delay_alu instid0(VALU_DEP_1) | instskip(NEXT) | instid1(VALU_DEP_1)
	v_cndmask_b32_e64 v12, v12, v17, s4
	v_cndmask_b32_e64 v12, v12, v18, s13
	s_delay_alu instid0(VALU_DEP_1) | instskip(NEXT) | instid1(VALU_DEP_1)
	v_cndmask_b32_e64 v12, v12, v1, s8
	v_cndmask_b32_e64 v12, v12, v0, s0
	s_delay_alu instid0(VALU_DEP_1) | instskip(NEXT) | instid1(VALU_DEP_1)
	v_cndmask_b32_e64 v12, v12, v3, s10
	v_cndmask_b32_e64 v12, v12, v19, s11
	s_delay_alu instid0(VALU_DEP_1) | instskip(SKIP_1) | instid1(VALU_DEP_2)
	v_cndmask_b32_e64 v6, v12, v20, s12
	v_and_b32_e32 v12, 2, v9
	v_dual_cndmask_b32 v6, v6, v2 :: v_dual_and_b32 v9, 1, v9
	s_delay_alu instid0(VALU_DEP_2) | instskip(NEXT) | instid1(VALU_DEP_2)
	v_xor_b32_e32 v21, 2, v12
	v_and_b32_e32 v6, 0xff, v6
	s_delay_alu instid0(VALU_DEP_2)
	v_cmp_eq_u32_e64 s14, 10, v21
	v_cmp_eq_u32_e64 s15, 15, v21
	ds_swizzle_b32 v6, v6 offset:swizzle(SWAP,4)
	s_waitcnt lgkmcnt(0)
	v_cndmask_b32_e64 v7, v7, v6, s5
	v_cmp_eq_u32_e64 s5, 0, v11
	v_cndmask_b32_e64 v5, v5, v6, s3
	v_cmp_eq_u32_e64 s3, 1, v21
	;; [unrolled: 2-line block ×4, first 2 shown]
	v_cndmask_b32_e64 v13, v13, v6, s1
	v_cndmask_b32_e64 v14, v14, v6, s7
	v_cmp_eq_u32_e64 s7, 4, v21
	v_cndmask_b32_e64 v11, v10, v7, s3
	v_cndmask_b32_e64 v15, v15, v6, s2
	v_cmp_eq_u32_e64 s2, 5, v21
	v_cndmask_b32_e64 v16, v16, v6, s9
	v_cmp_eq_u32_e64 s9, 6, v21
	v_cndmask_b32_e64 v11, v11, v5, s5
	v_cndmask_b32_e64 v17, v17, v6, s4
	v_cmp_eq_u32_e64 s4, 7, v21
	;; [unrolled: 5-line block ×3, first 2 shown]
	v_cndmask_b32_e64 v0, v0, v6, s0
	v_cndmask_b32_e64 v3, v3, v6, s10
	v_cndmask_b32_e64 v11, v11, v13, s7
	v_cmp_eq_u32_e64 s10, 11, v21
	v_cndmask_b32_e64 v19, v19, v6, s11
	v_cmp_eq_u32_e64 s11, 12, v21
	v_cndmask_b32_e64 v20, v20, v6, s12
	v_cndmask_b32_e64 v11, v11, v14, s2
	v_cmp_eq_u32_e64 s12, 13, v21
	v_cndmask_b32_e32 v2, v2, v6, vcc_lo
	v_cmp_eq_u32_e32 vcc_lo, 14, v21
	v_cmp_eq_u32_e64 s0, 0, v21
	v_cndmask_b32_e64 v11, v11, v15, s9
	v_cmp_ne_u32_e64 s1, 0, v12
	s_delay_alu instid0(VALU_DEP_2) | instskip(NEXT) | instid1(VALU_DEP_1)
	v_cndmask_b32_e64 v11, v11, v16, s4
	v_cndmask_b32_e64 v11, v11, v17, s13
	s_delay_alu instid0(VALU_DEP_1) | instskip(NEXT) | instid1(VALU_DEP_1)
	v_cndmask_b32_e64 v11, v11, v18, s8
	v_cndmask_b32_e64 v11, v11, v1, s14
	s_delay_alu instid0(VALU_DEP_1) | instskip(NEXT) | instid1(VALU_DEP_1)
	;; [unrolled: 3-line block ×3, first 2 shown]
	v_cndmask_b32_e64 v11, v11, v19, s12
	v_cndmask_b32_e32 v6, v11, v20, vcc_lo
	s_delay_alu instid0(VALU_DEP_1) | instskip(NEXT) | instid1(VALU_DEP_1)
	v_cndmask_b32_e64 v6, v6, v2, s15
	v_and_b32_e32 v6, 0xff, v6
	ds_swizzle_b32 v6, v6 offset:swizzle(SWAP,2)
	s_waitcnt lgkmcnt(0)
	v_cndmask_b32_e64 v10, v10, v6, s0
	v_cmp_eq_u32_e64 s0, 0, v12
	v_cndmask_b32_e64 v7, v7, v6, s3
	v_cndmask_b32_e64 v5, v5, v6, s5
	;; [unrolled: 1-line block ×9, first 2 shown]
	v_cmp_eq_u32_e64 s3, 2, v11
	v_cmp_eq_u32_e64 s2, 4, v11
	;; [unrolled: 1-line block ×5, first 2 shown]
	v_cndmask_b32_e64 v12, v12, v5, s3
	v_cndmask_b32_e64 v17, v17, v6, s13
	v_cmp_eq_u32_e64 s7, 8, v11
	v_cndmask_b32_e64 v18, v18, v6, s8
	v_cmp_eq_u32_e64 s8, 9, v11
	v_cndmask_b32_e64 v12, v12, v4, s0
	v_cndmask_b32_e64 v1, v1, v6, s14
	v_cmp_eq_u32_e64 s9, 10, v11
	v_cndmask_b32_e64 v0, v0, v6, s10
	v_cmp_eq_u32_e64 s10, 11, v11
	v_cndmask_b32_e64 v12, v12, v13, s2
	v_cndmask_b32_e64 v3, v3, v6, s11
	v_cmp_eq_u32_e64 s11, 12, v11
	v_cndmask_b32_e64 v19, v19, v6, s12
	v_cndmask_b32_e32 v20, v20, v6, vcc_lo
	v_cndmask_b32_e64 v12, v12, v14, s5
	v_cmp_eq_u32_e32 vcc_lo, 13, v11
	v_cmp_eq_u32_e64 s12, 14, v11
	v_cndmask_b32_e64 v2, v2, v6, s15
	v_cmp_eq_u32_e64 s13, 15, v11
	v_cndmask_b32_e64 v12, v12, v15, s4
	v_cmp_eq_u32_e64 s14, 0, v11
	s_delay_alu instid0(VALU_DEP_2) | instskip(NEXT) | instid1(VALU_DEP_1)
	v_cndmask_b32_e64 v12, v12, v16, s6
	v_cndmask_b32_e64 v12, v12, v17, s7
	s_delay_alu instid0(VALU_DEP_1) | instskip(NEXT) | instid1(VALU_DEP_1)
	v_cndmask_b32_e64 v12, v12, v18, s8
	v_cndmask_b32_e64 v12, v12, v1, s9
	s_delay_alu instid0(VALU_DEP_1) | instskip(NEXT) | instid1(VALU_DEP_1)
	;; [unrolled: 3-line block ×3, first 2 shown]
	v_cndmask_b32_e32 v12, v12, v19, vcc_lo
	v_cndmask_b32_e64 v6, v12, v20, s12
	v_cndmask_b32_e64 v12, 4, 6, s0
	s_delay_alu instid0(VALU_DEP_2) | instskip(NEXT) | instid1(VALU_DEP_1)
	v_cndmask_b32_e64 v6, v6, v2, s13
	v_and_b32_e32 v6, 0xff, v6
	ds_swizzle_b32 v6, v6 offset:swizzle(SWAP,2)
	s_waitcnt lgkmcnt(0)
	v_cndmask_b32_e64 v7, v7, v6, s1
	v_cndmask_b32_e64 v10, v10, v6, s14
	;; [unrolled: 1-line block ×3, first 2 shown]
	v_cmp_eq_u32_e64 s3, 1, v12
	v_cmp_eq_u32_e64 s14, 2, v12
	v_cndmask_b32_e64 v4, v4, v6, s0
	v_cndmask_b32_e64 v13, v13, v6, s2
	v_cmp_eq_u32_e64 s2, 3, v12
	v_cndmask_b32_e64 v11, v10, v7, s3
	v_cndmask_b32_e64 v14, v14, v6, s5
	;; [unrolled: 1-line block ×3, first 2 shown]
	v_cmp_eq_u32_e64 s4, 5, v12
	v_cndmask_b32_e64 v16, v16, v6, s6
	v_cndmask_b32_e64 v11, v11, v5, s14
	v_cmp_eq_u32_e64 s5, 7, v12
	v_cndmask_b32_e64 v17, v17, v6, s7
	v_cmp_eq_u32_e64 s6, 8, v12
	v_cndmask_b32_e64 v18, v18, v6, s8
	v_cndmask_b32_e64 v11, v11, v4, s2
	v_cmp_eq_u32_e64 s7, 9, v12
	v_cndmask_b32_e64 v1, v1, v6, s9
	;; [unrolled: 5-line block ×3, first 2 shown]
	v_cndmask_b32_e32 v19, v19, v6, vcc_lo
	v_cmp_eq_u32_e32 vcc_lo, 12, v12
	v_cndmask_b32_e64 v11, v11, v14, s4
	v_cmp_eq_u32_e64 s10, 13, v12
	v_cndmask_b32_e64 v20, v20, v6, s12
	v_cmp_eq_u32_e64 s11, 14, v12
	v_cndmask_b32_e64 v2, v2, v6, s13
	v_cndmask_b32_e64 v11, v11, v15, s0
	v_cmp_eq_u32_e64 s12, 15, v12
	s_delay_alu instid0(VALU_DEP_2) | instskip(NEXT) | instid1(VALU_DEP_1)
	v_cndmask_b32_e64 v11, v11, v16, s5
	v_cndmask_b32_e64 v11, v11, v17, s6
	s_delay_alu instid0(VALU_DEP_1) | instskip(NEXT) | instid1(VALU_DEP_1)
	v_cndmask_b32_e64 v11, v11, v18, s7
	v_cndmask_b32_e64 v11, v11, v1, s8
	s_delay_alu instid0(VALU_DEP_1) | instskip(NEXT) | instid1(VALU_DEP_1)
	v_cndmask_b32_e64 v11, v11, v0, s9
	v_cndmask_b32_e32 v11, v11, v3, vcc_lo
	s_delay_alu instid0(VALU_DEP_1) | instskip(NEXT) | instid1(VALU_DEP_1)
	v_cndmask_b32_e64 v11, v11, v19, s10
	v_cndmask_b32_e64 v6, v11, v20, s11
	v_cndmask_b32_e64 v11, 5, 7, s0
	s_delay_alu instid0(VALU_DEP_2) | instskip(NEXT) | instid1(VALU_DEP_2)
	v_cndmask_b32_e64 v6, v6, v2, s12
	v_cmp_eq_u32_e64 s13, 3, v11
	s_delay_alu instid0(VALU_DEP_2)
	v_and_b32_e32 v6, 0xff, v6
	ds_swizzle_b32 v6, v6 offset:swizzle(SWAP,2)
	s_waitcnt lgkmcnt(0)
	v_cndmask_b32_e64 v7, v7, v6, s3
	v_cmp_eq_u32_e64 s3, 0, v12
	v_cndmask_b32_e64 v5, v5, v6, s14
	v_cndmask_b32_e64 v4, v4, v6, s2
	v_cmp_eq_u32_e64 s2, 2, v11
	v_cndmask_b32_e64 v13, v13, v6, s1
	v_cndmask_b32_e64 v10, v10, v6, s3
	v_cmp_eq_u32_e64 s3, 1, v11
	v_cndmask_b32_e64 v14, v14, v6, s4
	v_cmp_eq_u32_e64 s4, 4, v11
	v_cndmask_b32_e64 v15, v15, v6, s0
	v_cndmask_b32_e64 v16, v16, v6, s5
	v_cndmask_b32_e64 v12, v10, v7, s3
	v_cmp_eq_u32_e64 s5, 6, v11
	v_cndmask_b32_e64 v17, v17, v6, s6
	v_cmp_eq_u32_e64 s6, 8, v11
	v_cndmask_b32_e64 v18, v18, v6, s7
	v_cndmask_b32_e64 v12, v12, v5, s2
	v_cmp_eq_u32_e64 s7, 9, v11
	v_cndmask_b32_e64 v1, v1, v6, s8
	v_cmp_eq_u32_e64 s8, 10, v11
	v_cndmask_b32_e64 v0, v0, v6, s9
	v_cndmask_b32_e64 v12, v12, v4, s13
	v_cndmask_b32_e32 v3, v3, v6, vcc_lo
	v_cmp_eq_u32_e32 vcc_lo, 11, v11
	v_cmp_eq_u32_e64 s9, 12, v11
	v_cndmask_b32_e64 v19, v19, v6, s10
	v_cndmask_b32_e64 v12, v12, v13, s4
	v_cmp_eq_u32_e64 s10, 13, v11
	v_cndmask_b32_e64 v20, v20, v6, s11
	v_cmp_eq_u32_e64 s11, 14, v11
	v_cndmask_b32_e64 v2, v2, v6, s12
	v_cndmask_b32_e64 v12, v12, v14, s1
	v_cmp_eq_u32_e64 s12, 15, v11
	s_delay_alu instid0(VALU_DEP_2) | instskip(NEXT) | instid1(VALU_DEP_1)
	v_cndmask_b32_e64 v12, v12, v15, s5
	v_cndmask_b32_e64 v12, v12, v16, s0
	s_delay_alu instid0(VALU_DEP_1) | instskip(NEXT) | instid1(VALU_DEP_1)
	v_cndmask_b32_e64 v12, v12, v17, s6
	v_cndmask_b32_e64 v12, v12, v18, s7
	s_delay_alu instid0(VALU_DEP_1) | instskip(NEXT) | instid1(VALU_DEP_1)
	v_cndmask_b32_e64 v12, v12, v1, s8
	v_cndmask_b32_e32 v12, v12, v0, vcc_lo
	s_delay_alu instid0(VALU_DEP_1) | instskip(NEXT) | instid1(VALU_DEP_1)
	v_cndmask_b32_e64 v12, v12, v3, s9
	v_cndmask_b32_e64 v12, v12, v19, s10
	s_delay_alu instid0(VALU_DEP_1) | instskip(SKIP_1) | instid1(VALU_DEP_2)
	v_cndmask_b32_e64 v6, v12, v20, s11
	v_cndmask_b32_e64 v12, 8, 10, s0
	;; [unrolled: 1-line block ×3, first 2 shown]
	s_delay_alu instid0(VALU_DEP_2) | instskip(NEXT) | instid1(VALU_DEP_2)
	v_cmp_eq_u32_e64 s14, 6, v12
	v_and_b32_e32 v6, 0xff, v6
	ds_swizzle_b32 v6, v6 offset:swizzle(SWAP,2)
	s_waitcnt lgkmcnt(0)
	v_cndmask_b32_e64 v7, v7, v6, s3
	v_cmp_eq_u32_e64 s3, 0, v11
	v_cndmask_b32_e64 v5, v5, v6, s2
	v_cmp_eq_u32_e64 s2, 1, v12
	v_cndmask_b32_e64 v4, v4, v6, s13
	v_cndmask_b32_e64 v13, v13, v6, s4
	;; [unrolled: 1-line block ×3, first 2 shown]
	v_cmp_eq_u32_e64 s3, 2, v12
	v_cmp_eq_u32_e64 s4, 3, v12
	;; [unrolled: 1-line block ×3, first 2 shown]
	v_cndmask_b32_e64 v14, v14, v6, s1
	v_cndmask_b32_e64 v11, v10, v7, s2
	;; [unrolled: 1-line block ×3, first 2 shown]
	v_cmp_eq_u32_e64 s5, 5, v12
	v_cndmask_b32_e64 v16, v16, v6, s0
	v_cndmask_b32_e64 v17, v17, v6, s6
	;; [unrolled: 1-line block ×3, first 2 shown]
	v_cmp_eq_u32_e64 s6, 7, v12
	v_cndmask_b32_e64 v18, v18, v6, s7
	v_cmp_eq_u32_e64 s7, 9, v12
	v_cndmask_b32_e64 v1, v1, v6, s8
	v_cndmask_b32_e64 v11, v11, v4, s4
	v_cndmask_b32_e32 v0, v0, v6, vcc_lo
	v_cmp_eq_u32_e32 vcc_lo, 11, v12
	v_cndmask_b32_e64 v3, v3, v6, s9
	v_cmp_eq_u32_e64 s8, 12, v12
	v_cndmask_b32_e64 v11, v11, v13, s13
	v_cndmask_b32_e64 v19, v19, v6, s10
	v_cmp_eq_u32_e64 s9, 13, v12
	v_cndmask_b32_e64 v20, v20, v6, s11
	v_cmp_eq_u32_e64 s10, 14, v12
	v_cndmask_b32_e64 v11, v11, v14, s5
	v_cndmask_b32_e64 v2, v2, v6, s12
	v_cmp_eq_u32_e64 s11, 15, v12
	s_delay_alu instid0(VALU_DEP_3) | instskip(NEXT) | instid1(VALU_DEP_1)
	v_cndmask_b32_e64 v11, v11, v15, s14
	v_cndmask_b32_e64 v11, v11, v16, s6
	s_delay_alu instid0(VALU_DEP_1) | instskip(NEXT) | instid1(VALU_DEP_1)
	v_cndmask_b32_e64 v11, v11, v17, s1
	v_cndmask_b32_e64 v11, v11, v18, s7
	s_delay_alu instid0(VALU_DEP_1) | instskip(NEXT) | instid1(VALU_DEP_1)
	v_cndmask_b32_e64 v11, v11, v1, s0
	v_cndmask_b32_e32 v11, v11, v0, vcc_lo
	s_delay_alu instid0(VALU_DEP_1) | instskip(NEXT) | instid1(VALU_DEP_1)
	v_cndmask_b32_e64 v11, v11, v3, s8
	v_cndmask_b32_e64 v11, v11, v19, s9
	s_delay_alu instid0(VALU_DEP_1) | instskip(SKIP_1) | instid1(VALU_DEP_2)
	v_cndmask_b32_e64 v6, v11, v20, s10
	v_cndmask_b32_e64 v11, 9, 11, s0
	;; [unrolled: 1-line block ×3, first 2 shown]
	s_delay_alu instid0(VALU_DEP_2) | instskip(NEXT) | instid1(VALU_DEP_2)
	v_cmp_eq_u32_e64 s12, 5, v11
	v_and_b32_e32 v6, 0xff, v6
	ds_swizzle_b32 v6, v6 offset:swizzle(SWAP,2)
	s_waitcnt lgkmcnt(0)
	v_cndmask_b32_e64 v7, v7, v6, s2
	v_cmp_eq_u32_e64 s2, 0, v12
	v_cndmask_b32_e64 v5, v5, v6, s3
	v_cmp_eq_u32_e64 s3, 2, v11
	;; [unrolled: 2-line block ×4, first 2 shown]
	v_cndmask_b32_e64 v13, v13, v6, s13
	v_cndmask_b32_e64 v14, v14, v6, s5
	v_cmp_eq_u32_e64 s5, 4, v11
	v_cndmask_b32_e64 v15, v15, v6, s14
	v_cndmask_b32_e64 v12, v10, v7, s2
	;; [unrolled: 1-line block ×3, first 2 shown]
	v_cmp_eq_u32_e64 s6, 6, v11
	v_cmp_eq_u32_e64 s13, 7, v11
	v_cndmask_b32_e64 v17, v17, v6, s1
	v_cndmask_b32_e64 v12, v12, v5, s3
	;; [unrolled: 1-line block ×3, first 2 shown]
	v_cmp_eq_u32_e64 s7, 8, v11
	v_cndmask_b32_e64 v1, v1, v6, s0
	v_cndmask_b32_e32 v0, v0, v6, vcc_lo
	v_cndmask_b32_e64 v12, v12, v4, s4
	v_cmp_eq_u32_e32 vcc_lo, 10, v11
	v_cndmask_b32_e64 v3, v3, v6, s8
	v_cmp_eq_u32_e64 s8, 12, v11
	v_cndmask_b32_e64 v19, v19, v6, s9
	v_cndmask_b32_e64 v12, v12, v13, s5
	v_cmp_eq_u32_e64 s9, 13, v11
	v_cndmask_b32_e64 v20, v20, v6, s10
	v_cmp_eq_u32_e64 s10, 14, v11
	v_cndmask_b32_e64 v2, v2, v6, s11
	v_cndmask_b32_e64 v12, v12, v14, s12
	v_cmp_eq_u32_e64 s11, 15, v11
	s_delay_alu instid0(VALU_DEP_2) | instskip(NEXT) | instid1(VALU_DEP_1)
	v_cndmask_b32_e64 v12, v12, v15, s6
	v_cndmask_b32_e64 v12, v12, v16, s13
	s_delay_alu instid0(VALU_DEP_1) | instskip(NEXT) | instid1(VALU_DEP_1)
	v_cndmask_b32_e64 v12, v12, v17, s7
	v_cndmask_b32_e64 v12, v12, v18, s1
	s_delay_alu instid0(VALU_DEP_1) | instskip(NEXT) | instid1(VALU_DEP_1)
	v_cndmask_b32_e32 v12, v12, v1, vcc_lo
	v_cndmask_b32_e64 v12, v12, v0, s0
	s_delay_alu instid0(VALU_DEP_1) | instskip(NEXT) | instid1(VALU_DEP_1)
	v_cndmask_b32_e64 v12, v12, v3, s8
	v_cndmask_b32_e64 v12, v12, v19, s9
	s_delay_alu instid0(VALU_DEP_1) | instskip(SKIP_1) | instid1(VALU_DEP_2)
	v_cndmask_b32_e64 v6, v12, v20, s10
	v_cndmask_b32_e64 v12, 12, 14, s0
	;; [unrolled: 1-line block ×3, first 2 shown]
	s_delay_alu instid0(VALU_DEP_2) | instskip(NEXT) | instid1(VALU_DEP_2)
	v_cmp_eq_u32_e64 s14, 10, v12
	v_and_b32_e32 v6, 0xff, v6
	ds_swizzle_b32 v6, v6 offset:swizzle(SWAP,2)
	s_waitcnt lgkmcnt(0)
	v_cndmask_b32_e64 v7, v7, v6, s2
	v_cmp_eq_u32_e64 s2, 0, v11
	v_cndmask_b32_e64 v5, v5, v6, s3
	v_cmp_eq_u32_e64 s3, 2, v12
	;; [unrolled: 2-line block ×5, first 2 shown]
	v_cndmask_b32_e64 v14, v14, v6, s12
	v_cndmask_b32_e64 v15, v15, v6, s6
	;; [unrolled: 1-line block ×3, first 2 shown]
	v_cmp_eq_u32_e64 s6, 5, v12
	v_cmp_eq_u32_e64 s12, 6, v12
	v_cndmask_b32_e64 v16, v16, v6, s13
	v_cndmask_b32_e64 v17, v17, v6, s7
	;; [unrolled: 1-line block ×3, first 2 shown]
	v_cmp_eq_u32_e64 s7, 7, v12
	v_cmp_eq_u32_e64 s13, 8, v12
	v_cndmask_b32_e64 v18, v18, v6, s1
	v_cndmask_b32_e32 v1, v1, v6, vcc_lo
	v_cndmask_b32_e64 v11, v11, v4, s4
	v_cmp_eq_u32_e32 vcc_lo, 9, v12
	v_cndmask_b32_e64 v0, v0, v6, s0
	v_cndmask_b32_e64 v3, v3, v6, s8
	v_cmp_eq_u32_e64 s8, 11, v12
	v_cndmask_b32_e64 v11, v11, v13, s5
	v_cndmask_b32_e64 v19, v19, v6, s9
	v_cmp_eq_u32_e64 s9, 13, v12
	v_cndmask_b32_e64 v20, v20, v6, s10
	v_cndmask_b32_e64 v2, v2, v6, s11
	;; [unrolled: 1-line block ×3, first 2 shown]
	v_cmp_eq_u32_e64 s10, 15, v12
	s_delay_alu instid0(VALU_DEP_2) | instskip(NEXT) | instid1(VALU_DEP_1)
	v_cndmask_b32_e64 v11, v11, v15, s12
	v_cndmask_b32_e64 v11, v11, v16, s7
	s_delay_alu instid0(VALU_DEP_1) | instskip(NEXT) | instid1(VALU_DEP_1)
	v_cndmask_b32_e64 v11, v11, v17, s13
	v_cndmask_b32_e32 v11, v11, v18, vcc_lo
	s_delay_alu instid0(VALU_DEP_1) | instskip(NEXT) | instid1(VALU_DEP_1)
	v_cndmask_b32_e64 v11, v11, v1, s14
	v_cndmask_b32_e64 v11, v11, v0, s8
	s_delay_alu instid0(VALU_DEP_1) | instskip(NEXT) | instid1(VALU_DEP_1)
	v_cndmask_b32_e64 v11, v11, v3, s1
	v_cndmask_b32_e64 v11, v11, v19, s9
	s_delay_alu instid0(VALU_DEP_1) | instskip(SKIP_1) | instid1(VALU_DEP_2)
	v_cndmask_b32_e64 v6, v11, v20, s0
	v_cndmask_b32_e64 v11, 13, 15, s0
	v_cndmask_b32_e64 v6, v6, v2, s10
	s_delay_alu instid0(VALU_DEP_2) | instskip(NEXT) | instid1(VALU_DEP_2)
	v_cmp_eq_u32_e64 s11, 7, v11
	v_and_b32_e32 v6, 0xff, v6
	ds_swizzle_b32 v6, v6 offset:swizzle(SWAP,2)
	s_waitcnt lgkmcnt(0)
	v_cndmask_b32_e64 v7, v7, v6, s2
	v_cmp_eq_u32_e64 s2, 0, v12
	v_cndmask_b32_e64 v5, v5, v6, s3
	v_cmp_eq_u32_e64 s3, 2, v11
	;; [unrolled: 2-line block ×6, first 2 shown]
	v_cndmask_b32_e64 v12, v10, v7, s2
	v_cndmask_b32_e64 v15, v15, v6, s12
	;; [unrolled: 1-line block ×3, first 2 shown]
	v_cmp_eq_u32_e64 s7, 6, v11
	v_cndmask_b32_e64 v17, v17, v6, s13
	v_cndmask_b32_e64 v12, v12, v5, s3
	v_cmp_eq_u32_e64 s12, 8, v11
	v_cndmask_b32_e32 v18, v18, v6, vcc_lo
	v_cmp_eq_u32_e64 s13, 9, v11
	v_cndmask_b32_e64 v1, v1, v6, s14
	v_cndmask_b32_e64 v12, v12, v4, s4
	;; [unrolled: 1-line block ×3, first 2 shown]
	v_cmp_eq_u32_e64 s8, 10, v11
	v_cmp_eq_u32_e64 s14, 11, v11
	v_cndmask_b32_e64 v3, v3, v6, s1
	v_cndmask_b32_e64 v12, v12, v13, s5
	;; [unrolled: 1-line block ×3, first 2 shown]
	v_cmp_eq_u32_e64 s9, 12, v11
	v_cndmask_b32_e64 v20, v20, v6, s0
	v_cndmask_b32_e64 v2, v2, v6, s10
	;; [unrolled: 1-line block ×3, first 2 shown]
	v_cmp_eq_u32_e64 s10, 14, v11
	v_cmp_eq_u32_e32 vcc_lo, 0, v11
	v_xor_b32_e32 v11, 1, v9
	s_delay_alu instid0(VALU_DEP_4) | instskip(NEXT) | instid1(VALU_DEP_1)
	v_cndmask_b32_e64 v12, v12, v15, s7
	v_cndmask_b32_e64 v12, v12, v16, s11
	s_delay_alu instid0(VALU_DEP_1) | instskip(NEXT) | instid1(VALU_DEP_1)
	v_cndmask_b32_e64 v12, v12, v17, s12
	v_cndmask_b32_e64 v12, v12, v18, s13
	s_delay_alu instid0(VALU_DEP_1) | instskip(NEXT) | instid1(VALU_DEP_1)
	v_cndmask_b32_e64 v12, v12, v1, s8
	v_cndmask_b32_e64 v12, v12, v0, s14
	s_delay_alu instid0(VALU_DEP_1) | instskip(NEXT) | instid1(VALU_DEP_1)
	v_cndmask_b32_e64 v12, v12, v3, s9
	v_cndmask_b32_e64 v12, v12, v19, s1
	s_delay_alu instid0(VALU_DEP_1) | instskip(NEXT) | instid1(VALU_DEP_1)
	v_cndmask_b32_e64 v6, v12, v20, s10
	v_cndmask_b32_e64 v6, v6, v2, s0
	s_delay_alu instid0(VALU_DEP_1)
	v_and_b32_e32 v6, 0xff, v6
	ds_swizzle_b32 v6, v6 offset:swizzle(SWAP,2)
	s_waitcnt lgkmcnt(0)
	v_cndmask_b32_e32 v10, v10, v6, vcc_lo
	v_cndmask_b32_e64 v7, v7, v6, s2
	v_cmp_eq_u32_e32 vcc_lo, 1, v9
	v_cndmask_b32_e64 v5, v5, v6, s3
	v_cmp_eq_u32_e64 s2, 2, v11
	v_cndmask_b32_e64 v4, v4, v6, s4
	v_cmp_eq_u32_e64 s3, 3, v11
	v_cndmask_b32_e32 v12, v7, v10, vcc_lo
	v_cndmask_b32_e64 v13, v13, v6, s5
	v_cmp_eq_u32_e64 s4, 4, v11
	v_cndmask_b32_e64 v14, v14, v6, s6
	v_cmp_eq_u32_e64 s5, 5, v11
	v_cndmask_b32_e64 v12, v12, v5, s2
	v_cndmask_b32_e64 v15, v15, v6, s7
	v_cmp_eq_u32_e64 s6, 6, v11
	v_cndmask_b32_e64 v16, v16, v6, s11
	v_cmp_eq_u32_e64 s7, 7, v11
	v_cndmask_b32_e64 v12, v12, v4, s3
	v_cndmask_b32_e64 v17, v17, v6, s12
	v_cmp_eq_u32_e64 s11, 8, v11
	v_cndmask_b32_e64 v18, v18, v6, s13
	v_cndmask_b32_e64 v1, v1, v6, s8
	;; [unrolled: 1-line block ×3, first 2 shown]
	v_cmp_eq_u32_e64 s8, 9, v11
	v_cmp_eq_u32_e64 s12, 10, v11
	v_cndmask_b32_e64 v0, v0, v6, s14
	v_cndmask_b32_e64 v3, v3, v6, s9
	;; [unrolled: 1-line block ×3, first 2 shown]
	v_cmp_eq_u32_e64 s9, 11, v11
	v_cndmask_b32_e64 v19, v19, v6, s1
	v_cmp_eq_u32_e64 s1, 12, v11
	v_cndmask_b32_e64 v20, v20, v6, s10
	v_cndmask_b32_e64 v12, v12, v15, s6
	v_cmp_eq_u32_e64 s10, 13, v11
	v_cmp_eq_u32_e64 s13, 14, v11
	v_cndmask_b32_e64 v2, v2, v6, s0
	v_cmp_eq_u32_e64 s14, 15, v11
	v_cndmask_b32_e64 v12, v12, v16, s7
	v_cmp_eq_u32_e64 s0, 0, v9
	s_delay_alu instid0(VALU_DEP_2) | instskip(NEXT) | instid1(VALU_DEP_2)
	v_cndmask_b32_e64 v12, v12, v17, s11
	v_cndmask_b32_e64 v9, 2, 3, s0
	s_delay_alu instid0(VALU_DEP_2) | instskip(NEXT) | instid1(VALU_DEP_1)
	v_cndmask_b32_e64 v12, v12, v18, s8
	v_cndmask_b32_e64 v12, v12, v1, s12
	s_delay_alu instid0(VALU_DEP_1) | instskip(NEXT) | instid1(VALU_DEP_1)
	v_cndmask_b32_e64 v12, v12, v0, s9
	v_cndmask_b32_e64 v12, v12, v3, s1
	s_delay_alu instid0(VALU_DEP_1) | instskip(NEXT) | instid1(VALU_DEP_1)
	;; [unrolled: 3-line block ×3, first 2 shown]
	v_cndmask_b32_e64 v6, v6, v2, s14
	v_and_b32_e32 v6, 0xff, v6
	ds_swizzle_b32 v6, v6 offset:swizzle(SWAP,1)
	s_waitcnt lgkmcnt(0)
	v_cndmask_b32_e32 v7, v6, v7, vcc_lo
	v_cndmask_b32_e32 v10, v10, v6, vcc_lo
	v_cndmask_b32_e64 v5, v5, v6, s2
	v_cmp_eq_u32_e64 s2, 1, v9
	v_cndmask_b32_e64 v4, v4, v6, s3
	v_cndmask_b32_e64 v12, v13, v6, s4
	v_cmp_eq_u32_e64 s3, 4, v9
	v_cndmask_b32_e64 v13, v14, v6, s5
	;; [unrolled: 3-line block ×3, first 2 shown]
	v_cmp_eq_u32_e64 s5, 6, v9
	v_cndmask_b32_e64 v15, v16, v6, s7
	v_cndmask_b32_e32 v11, v11, v5, vcc_lo
	v_cmp_eq_u32_e64 s6, 7, v9
	v_cndmask_b32_e64 v16, v17, v6, s11
	v_cmp_eq_u32_e64 s7, 8, v9
	v_cndmask_b32_e64 v17, v18, v6, s8
	v_cndmask_b32_e64 v11, v11, v4, s0
	v_cmp_eq_u32_e64 s8, 9, v9
	v_cndmask_b32_e64 v1, v1, v6, s12
	;; [unrolled: 3-line block ×4, first 2 shown]
	v_cmp_eq_u32_e64 s10, 12, v9
	v_cndmask_b32_e64 v11, v11, v13, s4
	v_cmp_eq_u32_e64 s11, 13, v9
	v_cndmask_b32_e64 v19, v20, v6, s13
	;; [unrolled: 2-line block ×3, first 2 shown]
	v_cndmask_b32_e64 v11, v11, v14, s5
	v_cmp_eq_u32_e64 s13, 15, v9
	s_delay_alu instid0(VALU_DEP_2) | instskip(NEXT) | instid1(VALU_DEP_1)
	v_cndmask_b32_e64 v11, v11, v15, s6
	v_cndmask_b32_e64 v11, v11, v16, s7
	s_delay_alu instid0(VALU_DEP_1) | instskip(NEXT) | instid1(VALU_DEP_1)
	v_cndmask_b32_e64 v11, v11, v17, s8
	v_cndmask_b32_e64 v11, v11, v1, s9
	s_delay_alu instid0(VALU_DEP_1) | instskip(NEXT) | instid1(VALU_DEP_1)
	;; [unrolled: 3-line block ×3, first 2 shown]
	v_cndmask_b32_e64 v11, v11, v18, s11
	v_cndmask_b32_e64 v6, v11, v19, s12
	v_cndmask_b32_e64 v11, 4, 5, s0
	s_delay_alu instid0(VALU_DEP_2) | instskip(NEXT) | instid1(VALU_DEP_2)
	v_cndmask_b32_e64 v6, v6, v2, s13
	v_cmp_eq_u32_e64 s14, 2, v11
	s_delay_alu instid0(VALU_DEP_2)
	v_and_b32_e32 v6, 0xff, v6
	ds_swizzle_b32 v6, v6 offset:swizzle(SWAP,1)
	s_waitcnt lgkmcnt(0)
	v_cndmask_b32_e64 v7, v7, v6, s2
	v_cmp_eq_u32_e64 s2, 0, v9
	v_cndmask_b32_e32 v5, v5, v6, vcc_lo
	v_cndmask_b32_e64 v4, v4, v6, s0
	v_cndmask_b32_e64 v12, v12, v6, s3
	v_cmp_eq_u32_e64 s3, 3, v11
	v_cndmask_b32_e64 v9, v10, v6, s2
	v_cmp_eq_u32_e64 s2, 1, v11
	v_cndmask_b32_e64 v13, v13, v6, s4
	v_cndmask_b32_e64 v14, v14, v6, s5
	v_cmp_eq_u32_e64 s4, 6, v11
	v_cndmask_b32_e64 v15, v15, v6, s6
	;; [unrolled: 3-line block ×3, first 2 shown]
	v_cmp_eq_u32_e64 s6, 8, v11
	v_cndmask_b32_e64 v17, v17, v6, s8
	v_cndmask_b32_e64 v10, v10, v5, s14
	v_cmp_eq_u32_e64 s7, 9, v11
	v_cndmask_b32_e64 v1, v1, v6, s9
	v_cndmask_b32_e64 v0, v0, v6, s1
	v_cmp_eq_u32_e64 s1, 10, v11
	v_cndmask_b32_e64 v10, v10, v4, s3
	v_cmp_eq_u32_e64 s8, 11, v11
	;; [unrolled: 2-line block ×3, first 2 shown]
	v_cndmask_b32_e64 v18, v18, v6, s11
	v_cndmask_b32_e32 v10, v10, v12, vcc_lo
	v_cmp_eq_u32_e64 s10, 13, v11
	v_cndmask_b32_e64 v19, v19, v6, s12
	v_cmp_eq_u32_e64 s11, 14, v11
	v_cndmask_b32_e64 v2, v2, v6, s13
	v_cndmask_b32_e64 v10, v10, v13, s0
	v_cmp_eq_u32_e64 s12, 15, v11
	s_delay_alu instid0(VALU_DEP_2) | instskip(NEXT) | instid1(VALU_DEP_1)
	v_cndmask_b32_e64 v10, v10, v14, s4
	v_cndmask_b32_e64 v10, v10, v15, s5
	s_delay_alu instid0(VALU_DEP_1) | instskip(NEXT) | instid1(VALU_DEP_1)
	v_cndmask_b32_e64 v10, v10, v16, s6
	v_cndmask_b32_e64 v10, v10, v17, s7
	s_delay_alu instid0(VALU_DEP_1) | instskip(NEXT) | instid1(VALU_DEP_1)
	;; [unrolled: 3-line block ×3, first 2 shown]
	v_cndmask_b32_e64 v10, v10, v3, s9
	v_cndmask_b32_e64 v10, v10, v18, s10
	s_delay_alu instid0(VALU_DEP_1) | instskip(SKIP_1) | instid1(VALU_DEP_2)
	v_cndmask_b32_e64 v6, v10, v19, s11
	v_cndmask_b32_e64 v10, 6, 7, s0
	;; [unrolled: 1-line block ×3, first 2 shown]
	s_delay_alu instid0(VALU_DEP_2) | instskip(NEXT) | instid1(VALU_DEP_2)
	v_cmp_eq_u32_e64 s13, 3, v10
	v_and_b32_e32 v6, 0xff, v6
	ds_swizzle_b32 v6, v6 offset:swizzle(SWAP,1)
	s_waitcnt lgkmcnt(0)
	v_cndmask_b32_e64 v7, v7, v6, s2
	v_cmp_eq_u32_e64 s2, 0, v11
	v_cndmask_b32_e64 v5, v5, v6, s14
	v_cndmask_b32_e64 v4, v4, v6, s3
	v_cmp_eq_u32_e64 s3, 2, v10
	v_cndmask_b32_e32 v12, v12, v6, vcc_lo
	v_cndmask_b32_e64 v9, v9, v6, s2
	v_cmp_eq_u32_e64 s2, 1, v10
	v_cmp_eq_u32_e64 s14, 4, v10
	v_cndmask_b32_e64 v13, v13, v6, s0
	v_cndmask_b32_e64 v14, v14, v6, s4
	v_cmp_eq_u32_e64 s4, 5, v10
	v_cndmask_b32_e64 v11, v9, v7, s2
	v_cndmask_b32_e64 v15, v15, v6, s5
	;; [unrolled: 1-line block ×3, first 2 shown]
	v_cmp_eq_u32_e64 s5, 8, v10
	v_cndmask_b32_e64 v17, v17, v6, s7
	v_cndmask_b32_e64 v11, v11, v5, s3
	;; [unrolled: 1-line block ×3, first 2 shown]
	v_cmp_eq_u32_e64 s1, 9, v10
	v_cmp_eq_u32_e64 s6, 10, v10
	v_cndmask_b32_e64 v0, v0, v6, s8
	v_cndmask_b32_e64 v11, v11, v4, s13
	v_cmp_eq_u32_e64 s7, 11, v10
	v_cndmask_b32_e64 v3, v3, v6, s9
	v_cmp_eq_u32_e64 s8, 12, v10
	v_cndmask_b32_e64 v18, v18, v6, s10
	v_cndmask_b32_e64 v11, v11, v12, s14
	v_cmp_eq_u32_e64 s9, 13, v10
	v_cndmask_b32_e64 v19, v19, v6, s11
	v_cmp_eq_u32_e64 s10, 14, v10
	v_cndmask_b32_e64 v2, v2, v6, s12
	v_cndmask_b32_e64 v11, v11, v13, s4
	v_cmp_eq_u32_e64 s11, 15, v10
	s_delay_alu instid0(VALU_DEP_2) | instskip(NEXT) | instid1(VALU_DEP_1)
	v_cndmask_b32_e32 v11, v11, v14, vcc_lo
	v_cndmask_b32_e64 v11, v11, v15, s0
	s_delay_alu instid0(VALU_DEP_1) | instskip(NEXT) | instid1(VALU_DEP_1)
	v_cndmask_b32_e64 v11, v11, v16, s5
	v_cndmask_b32_e64 v11, v11, v17, s1
	s_delay_alu instid0(VALU_DEP_1) | instskip(NEXT) | instid1(VALU_DEP_1)
	v_cndmask_b32_e64 v11, v11, v1, s6
	;; [unrolled: 3-line block ×3, first 2 shown]
	v_cndmask_b32_e64 v11, v11, v18, s9
	s_delay_alu instid0(VALU_DEP_1) | instskip(SKIP_1) | instid1(VALU_DEP_2)
	v_cndmask_b32_e64 v6, v11, v19, s10
	v_cndmask_b32_e64 v11, 8, 9, s0
	;; [unrolled: 1-line block ×3, first 2 shown]
	s_delay_alu instid0(VALU_DEP_2) | instskip(NEXT) | instid1(VALU_DEP_2)
	v_cmp_eq_u32_e64 s12, 3, v11
	v_and_b32_e32 v6, 0xff, v6
	ds_swizzle_b32 v6, v6 offset:swizzle(SWAP,1)
	s_waitcnt lgkmcnt(0)
	v_cndmask_b32_e64 v7, v7, v6, s2
	v_cmp_eq_u32_e64 s2, 0, v10
	v_cndmask_b32_e64 v5, v5, v6, s3
	v_cmp_eq_u32_e64 s3, 2, v11
	v_cndmask_b32_e64 v4, v4, v6, s13
	v_cndmask_b32_e64 v12, v12, v6, s14
	;; [unrolled: 1-line block ×3, first 2 shown]
	v_cmp_eq_u32_e64 s2, 1, v11
	v_cndmask_b32_e64 v13, v13, v6, s4
	v_cmp_eq_u32_e64 s4, 4, v11
	v_cmp_eq_u32_e64 s13, 5, v11
	v_cndmask_b32_e32 v14, v14, v6, vcc_lo
	v_cndmask_b32_e64 v10, v9, v7, s2
	v_cmp_eq_u32_e64 s14, 6, v11
	v_cndmask_b32_e64 v15, v15, v6, s0
	v_cndmask_b32_e64 v16, v16, v6, s5
	v_cmp_eq_u32_e64 s5, 7, v11
	v_cndmask_b32_e64 v10, v10, v5, s3
	v_cndmask_b32_e64 v17, v17, v6, s1
	;; [unrolled: 1-line block ×3, first 2 shown]
	v_cmp_eq_u32_e64 s1, 10, v11
	v_cndmask_b32_e64 v0, v0, v6, s7
	v_cndmask_b32_e64 v10, v10, v4, s12
	v_cmp_eq_u32_e64 s6, 11, v11
	v_cndmask_b32_e64 v3, v3, v6, s8
	v_cmp_eq_u32_e64 s7, 12, v11
	v_cndmask_b32_e64 v18, v18, v6, s9
	v_cndmask_b32_e64 v10, v10, v12, s4
	v_cmp_eq_u32_e64 s8, 13, v11
	v_cndmask_b32_e64 v19, v19, v6, s10
	v_cmp_eq_u32_e64 s9, 14, v11
	v_cndmask_b32_e64 v2, v2, v6, s11
	v_cndmask_b32_e64 v10, v10, v13, s13
	v_cmp_eq_u32_e64 s10, 15, v11
	s_delay_alu instid0(VALU_DEP_2) | instskip(NEXT) | instid1(VALU_DEP_1)
	v_cndmask_b32_e64 v10, v10, v14, s14
	v_cndmask_b32_e64 v10, v10, v15, s5
	s_delay_alu instid0(VALU_DEP_1) | instskip(NEXT) | instid1(VALU_DEP_1)
	v_cndmask_b32_e32 v10, v10, v16, vcc_lo
	v_cndmask_b32_e64 v10, v10, v17, s0
	s_delay_alu instid0(VALU_DEP_1) | instskip(NEXT) | instid1(VALU_DEP_1)
	v_cndmask_b32_e64 v10, v10, v1, s1
	v_cndmask_b32_e64 v10, v10, v0, s6
	s_delay_alu instid0(VALU_DEP_1) | instskip(NEXT) | instid1(VALU_DEP_1)
	v_cndmask_b32_e64 v10, v10, v3, s7
	v_cndmask_b32_e64 v10, v10, v18, s8
	s_delay_alu instid0(VALU_DEP_1) | instskip(SKIP_1) | instid1(VALU_DEP_2)
	v_cndmask_b32_e64 v6, v10, v19, s9
	v_cndmask_b32_e64 v10, 10, 11, s0
	;; [unrolled: 1-line block ×3, first 2 shown]
	s_delay_alu instid0(VALU_DEP_2) | instskip(NEXT) | instid1(VALU_DEP_2)
	v_cmp_eq_u32_e64 s11, 4, v10
	v_and_b32_e32 v6, 0xff, v6
	ds_swizzle_b32 v6, v6 offset:swizzle(SWAP,1)
	s_waitcnt lgkmcnt(0)
	v_cndmask_b32_e64 v7, v7, v6, s2
	v_cmp_eq_u32_e64 s2, 0, v11
	v_cndmask_b32_e64 v5, v5, v6, s3
	v_cmp_eq_u32_e64 s3, 2, v10
	v_cndmask_b32_e64 v4, v4, v6, s12
	v_cndmask_b32_e64 v12, v12, v6, s4
	;; [unrolled: 1-line block ×3, first 2 shown]
	v_cmp_eq_u32_e64 s2, 1, v10
	v_cmp_eq_u32_e64 s4, 3, v10
	v_cndmask_b32_e64 v13, v13, v6, s13
	v_cmp_eq_u32_e64 s12, 5, v10
	v_cndmask_b32_e64 v14, v14, v6, s14
	v_cndmask_b32_e64 v11, v9, v7, s2
	;; [unrolled: 1-line block ×3, first 2 shown]
	v_cmp_eq_u32_e64 s5, 6, v10
	v_cmp_eq_u32_e64 s13, 7, v10
	v_cndmask_b32_e32 v16, v16, v6, vcc_lo
	v_cndmask_b32_e64 v11, v11, v5, s3
	v_cmp_eq_u32_e64 s14, 8, v10
	v_cndmask_b32_e64 v17, v17, v6, s0
	v_cndmask_b32_e64 v1, v1, v6, s1
	v_cmp_eq_u32_e64 s1, 9, v10
	v_cndmask_b32_e64 v11, v11, v4, s4
	v_cndmask_b32_e64 v0, v0, v6, s6
	;; [unrolled: 1-line block ×3, first 2 shown]
	v_cmp_eq_u32_e64 s6, 12, v10
	v_cndmask_b32_e64 v18, v18, v6, s8
	v_cndmask_b32_e64 v11, v11, v12, s11
	v_cmp_eq_u32_e64 s7, 13, v10
	v_cndmask_b32_e64 v19, v19, v6, s9
	v_cmp_eq_u32_e64 s8, 14, v10
	v_cndmask_b32_e64 v2, v2, v6, s10
	v_cndmask_b32_e64 v11, v11, v13, s12
	v_cmp_eq_u32_e64 s9, 15, v10
	s_delay_alu instid0(VALU_DEP_2) | instskip(NEXT) | instid1(VALU_DEP_1)
	v_cndmask_b32_e64 v11, v11, v14, s5
	v_cndmask_b32_e64 v11, v11, v15, s13
	s_delay_alu instid0(VALU_DEP_1) | instskip(NEXT) | instid1(VALU_DEP_1)
	v_cndmask_b32_e64 v11, v11, v16, s14
	v_cndmask_b32_e64 v11, v11, v17, s1
	s_delay_alu instid0(VALU_DEP_1) | instskip(NEXT) | instid1(VALU_DEP_1)
	v_cndmask_b32_e32 v11, v11, v1, vcc_lo
	v_cndmask_b32_e64 v11, v11, v0, s0
	s_delay_alu instid0(VALU_DEP_1) | instskip(NEXT) | instid1(VALU_DEP_1)
	v_cndmask_b32_e64 v11, v11, v3, s6
	v_cndmask_b32_e64 v11, v11, v18, s7
	s_delay_alu instid0(VALU_DEP_1) | instskip(SKIP_1) | instid1(VALU_DEP_2)
	v_cndmask_b32_e64 v6, v11, v19, s8
	v_cndmask_b32_e64 v11, 12, 13, s0
	;; [unrolled: 1-line block ×3, first 2 shown]
	s_delay_alu instid0(VALU_DEP_2) | instskip(NEXT) | instid1(VALU_DEP_2)
	v_cmp_eq_u32_e64 s10, 4, v11
	v_and_b32_e32 v6, 0xff, v6
	ds_swizzle_b32 v6, v6 offset:swizzle(SWAP,1)
	s_waitcnt lgkmcnt(0)
	v_cndmask_b32_e64 v7, v7, v6, s2
	v_cmp_eq_u32_e64 s2, 0, v10
	v_cndmask_b32_e64 v5, v5, v6, s3
	v_cmp_eq_u32_e64 s3, 2, v11
	;; [unrolled: 2-line block ×4, first 2 shown]
	v_cndmask_b32_e64 v12, v12, v6, s11
	v_cndmask_b32_e64 v13, v13, v6, s12
	;; [unrolled: 1-line block ×3, first 2 shown]
	v_cmp_eq_u32_e64 s5, 5, v11
	v_cndmask_b32_e64 v10, v9, v7, s2
	v_cmp_eq_u32_e64 s11, 6, v11
	v_cndmask_b32_e64 v15, v15, v6, s13
	;; [unrolled: 2-line block ×3, first 2 shown]
	v_cndmask_b32_e64 v10, v10, v5, s3
	v_cndmask_b32_e64 v17, v17, v6, s1
	v_cmp_eq_u32_e64 s1, 8, v11
	v_cmp_eq_u32_e64 s13, 9, v11
	v_cndmask_b32_e32 v1, v1, v6, vcc_lo
	v_cndmask_b32_e64 v10, v10, v4, s4
	v_cmp_eq_u32_e64 s14, 10, v11
	v_cndmask_b32_e64 v0, v0, v6, s0
	v_cndmask_b32_e64 v3, v3, v6, s6
	v_cmp_eq_u32_e64 s6, 11, v11
	v_cndmask_b32_e64 v10, v10, v12, s10
	v_cndmask_b32_e64 v18, v18, v6, s7
	;; [unrolled: 1-line block ×3, first 2 shown]
	v_cmp_eq_u32_e64 s7, 14, v11
	v_cndmask_b32_e64 v2, v2, v6, s9
	v_cndmask_b32_e64 v10, v10, v13, s5
	v_cmp_eq_u32_e64 s8, 15, v11
	s_delay_alu instid0(VALU_DEP_2) | instskip(NEXT) | instid1(VALU_DEP_1)
	v_cndmask_b32_e64 v10, v10, v14, s11
	v_cndmask_b32_e64 v10, v10, v15, s12
	s_delay_alu instid0(VALU_DEP_1) | instskip(NEXT) | instid1(VALU_DEP_1)
	v_cndmask_b32_e64 v10, v10, v16, s1
	v_cndmask_b32_e64 v10, v10, v17, s13
	s_delay_alu instid0(VALU_DEP_1) | instskip(NEXT) | instid1(VALU_DEP_1)
	;; [unrolled: 3-line block ×3, first 2 shown]
	v_cndmask_b32_e32 v10, v10, v3, vcc_lo
	v_cndmask_b32_e64 v10, v10, v18, s0
	s_delay_alu instid0(VALU_DEP_1) | instskip(SKIP_1) | instid1(VALU_DEP_2)
	v_cndmask_b32_e64 v6, v10, v19, s7
	v_cndmask_b32_e64 v10, 14, 15, s0
	;; [unrolled: 1-line block ×3, first 2 shown]
	s_delay_alu instid0(VALU_DEP_2) | instskip(NEXT) | instid1(VALU_DEP_2)
	v_cmp_eq_u32_e64 s9, 5, v10
	v_and_b32_e32 v6, 0xff, v6
	ds_swizzle_b32 v6, v6 offset:swizzle(SWAP,1)
	s_waitcnt lgkmcnt(0)
	v_cndmask_b32_e64 v7, v7, v6, s2
	v_cmp_eq_u32_e64 s2, 0, v11
	v_cndmask_b32_e64 v5, v5, v6, s3
	v_cmp_eq_u32_e64 s3, 2, v10
	;; [unrolled: 2-line block ×4, first 2 shown]
	v_cndmask_b32_e64 v12, v12, v6, s10
	v_cndmask_b32_e64 v13, v13, v6, s5
	v_cmp_eq_u32_e64 s5, 4, v10
	v_cndmask_b32_e64 v14, v14, v6, s11
	v_cndmask_b32_e64 v11, v9, v7, s2
	v_cmp_eq_u32_e64 s10, 6, v10
	;; [unrolled: 3-line block ×3, first 2 shown]
	v_cndmask_b32_e64 v11, v11, v5, s3
	v_cmp_eq_u32_e64 s11, 8, v10
	v_cndmask_b32_e64 v17, v17, v6, s13
	v_cmp_eq_u32_e64 s12, 9, v10
	v_cndmask_b32_e64 v1, v1, v6, s14
	v_cndmask_b32_e64 v11, v11, v4, s4
	v_cndmask_b32_e64 v0, v0, v6, s6
	v_cmp_eq_u32_e64 s6, 10, v10
	v_cmp_eq_u32_e64 s13, 11, v10
	v_cndmask_b32_e32 v3, v3, v6, vcc_lo
	v_cndmask_b32_e64 v11, v11, v12, s5
	v_cmp_eq_u32_e64 s14, 12, v10
	v_cndmask_b32_e64 v18, v18, v6, s0
	v_cndmask_b32_e64 v19, v19, v6, s7
	v_cmp_eq_u32_e64 s7, 13, v10
	v_cndmask_b32_e64 v11, v11, v13, s9
	v_cndmask_b32_e64 v2, v2, v6, s8
	s_delay_alu instid0(VALU_DEP_2) | instskip(NEXT) | instid1(VALU_DEP_1)
	v_cndmask_b32_e64 v11, v11, v14, s10
	v_cndmask_b32_e64 v11, v11, v15, s1
	s_delay_alu instid0(VALU_DEP_1) | instskip(NEXT) | instid1(VALU_DEP_1)
	v_cndmask_b32_e64 v11, v11, v16, s11
	v_cndmask_b32_e64 v11, v11, v17, s12
	s_delay_alu instid0(VALU_DEP_1) | instskip(NEXT) | instid1(VALU_DEP_1)
	;; [unrolled: 3-line block ×4, first 2 shown]
	v_cndmask_b32_e32 v6, v11, v19, vcc_lo
	v_cndmask_b32_e64 v6, v6, v2, s0
	s_delay_alu instid0(VALU_DEP_1)
	v_and_b32_e32 v6, 0xff, v6
	ds_swizzle_b32 v6, v6 offset:swizzle(SWAP,1)
	s_waitcnt lgkmcnt(0)
	v_cndmask_b32_e64 v11, v18, v6, s7
	v_cndmask_b32_e32 v18, v19, v6, vcc_lo
	v_cmp_eq_u32_e32 vcc_lo, 0, v10
	v_cndmask_b32_e64 v3, v3, v6, s14
	v_cndmask_b32_e64 v2, v2, v6, s0
	;; [unrolled: 1-line block ×11, first 2 shown]
	v_cndmask_b32_e32 v9, v9, v6, vcc_lo
	v_cndmask_b32_e64 v4, v4, v6, s4
	v_cndmask_b32_e64 v5, v5, v6, s3
	v_lshlrev_b16 v6, 8, v11
	v_and_b32_e32 v3, 0xff, v3
	v_lshlrev_b16 v2, 8, v2
	v_and_b32_e32 v10, 0xff, v18
	;; [unrolled: 2-line block ×8, first 2 shown]
	v_or_b32_e32 v3, v3, v6
	v_or_b32_e32 v2, v10, v2
	;; [unrolled: 1-line block ×8, first 2 shown]
	v_and_b32_e32 v3, 0xffff, v3
	v_lshlrev_b32_e32 v2, 16, v2
	v_and_b32_e32 v5, 0xffff, v6
	v_lshlrev_b32_e32 v0, 16, v0
	v_lshlrev_b32_e32 v4, 16, v4
	v_and_b32_e32 v1, 0xffff, v1
	v_lshlrev_b32_e32 v9, 16, v10
	v_and_b32_e32 v10, 0xffff, v7
	v_or_b32_e32 v7, v3, v2
	v_or_b32_e32 v6, v5, v0
	s_delay_alu instid0(VALU_DEP_4) | instskip(NEXT) | instid1(VALU_DEP_4)
	v_or_b32_e32 v5, v1, v9
	v_or_b32_e32 v4, v10, v4
.LBB11_4:
	v_add_co_u32 v0, s0, s98, v8
	s_delay_alu instid0(VALU_DEP_1)
	v_add_co_ci_u32_e64 v1, null, s99, 0, s0
	global_store_b128 v[0:1], v[4:7], off
	s_nop 0
	s_sendmsg sendmsg(MSG_DEALLOC_VGPRS)
	s_endpgm
	.section	.rodata,"a",@progbits
	.p2align	6, 0x0
	.amdhsa_kernel _Z20warp_exchange_kernelILj16ELj16EN6common25StripedToBlockedShuffleOpEaEvPT2_S3_b
		.amdhsa_group_segment_fixed_size 0
		.amdhsa_private_segment_fixed_size 0
		.amdhsa_kernarg_size 20
		.amdhsa_user_sgpr_count 15
		.amdhsa_user_sgpr_dispatch_ptr 0
		.amdhsa_user_sgpr_queue_ptr 0
		.amdhsa_user_sgpr_kernarg_segment_ptr 1
		.amdhsa_user_sgpr_dispatch_id 0
		.amdhsa_user_sgpr_private_segment_size 0
		.amdhsa_wavefront_size32 1
		.amdhsa_uses_dynamic_stack 0
		.amdhsa_enable_private_segment 0
		.amdhsa_system_sgpr_workgroup_id_x 1
		.amdhsa_system_sgpr_workgroup_id_y 0
		.amdhsa_system_sgpr_workgroup_id_z 0
		.amdhsa_system_sgpr_workgroup_info 0
		.amdhsa_system_vgpr_workitem_id 0
		.amdhsa_next_free_vgpr 41
		.amdhsa_next_free_sgpr 100
		.amdhsa_reserve_vcc 1
		.amdhsa_float_round_mode_32 0
		.amdhsa_float_round_mode_16_64 0
		.amdhsa_float_denorm_mode_32 3
		.amdhsa_float_denorm_mode_16_64 3
		.amdhsa_dx10_clamp 1
		.amdhsa_ieee_mode 1
		.amdhsa_fp16_overflow 0
		.amdhsa_workgroup_processor_mode 1
		.amdhsa_memory_ordered 1
		.amdhsa_forward_progress 0
		.amdhsa_shared_vgpr_count 0
		.amdhsa_exception_fp_ieee_invalid_op 0
		.amdhsa_exception_fp_denorm_src 0
		.amdhsa_exception_fp_ieee_div_zero 0
		.amdhsa_exception_fp_ieee_overflow 0
		.amdhsa_exception_fp_ieee_underflow 0
		.amdhsa_exception_fp_ieee_inexact 0
		.amdhsa_exception_int_div_zero 0
	.end_amdhsa_kernel
	.section	.text._Z20warp_exchange_kernelILj16ELj16EN6common25StripedToBlockedShuffleOpEaEvPT2_S3_b,"axG",@progbits,_Z20warp_exchange_kernelILj16ELj16EN6common25StripedToBlockedShuffleOpEaEvPT2_S3_b,comdat
.Lfunc_end11:
	.size	_Z20warp_exchange_kernelILj16ELj16EN6common25StripedToBlockedShuffleOpEaEvPT2_S3_b, .Lfunc_end11-_Z20warp_exchange_kernelILj16ELj16EN6common25StripedToBlockedShuffleOpEaEvPT2_S3_b
                                        ; -- End function
	.section	.AMDGPU.csdata,"",@progbits
; Kernel info:
; codeLenInByte = 25956
; NumSgprs: 102
; NumVgprs: 41
; ScratchSize: 0
; MemoryBound: 0
; FloatMode: 240
; IeeeMode: 1
; LDSByteSize: 0 bytes/workgroup (compile time only)
; SGPRBlocks: 12
; VGPRBlocks: 5
; NumSGPRsForWavesPerEU: 102
; NumVGPRsForWavesPerEU: 41
; Occupancy: 16
; WaveLimiterHint : 0
; COMPUTE_PGM_RSRC2:SCRATCH_EN: 0
; COMPUTE_PGM_RSRC2:USER_SGPR: 15
; COMPUTE_PGM_RSRC2:TRAP_HANDLER: 0
; COMPUTE_PGM_RSRC2:TGID_X_EN: 1
; COMPUTE_PGM_RSRC2:TGID_Y_EN: 0
; COMPUTE_PGM_RSRC2:TGID_Z_EN: 0
; COMPUTE_PGM_RSRC2:TIDIG_COMP_CNT: 0
	.section	.text._Z20warp_exchange_kernelILj8ELj8EN6common25StripedToBlockedShuffleOpEiEvPT2_S3_b,"axG",@progbits,_Z20warp_exchange_kernelILj8ELj8EN6common25StripedToBlockedShuffleOpEiEvPT2_S3_b,comdat
	.protected	_Z20warp_exchange_kernelILj8ELj8EN6common25StripedToBlockedShuffleOpEiEvPT2_S3_b ; -- Begin function _Z20warp_exchange_kernelILj8ELj8EN6common25StripedToBlockedShuffleOpEiEvPT2_S3_b
	.globl	_Z20warp_exchange_kernelILj8ELj8EN6common25StripedToBlockedShuffleOpEiEvPT2_S3_b
	.p2align	8
	.type	_Z20warp_exchange_kernelILj8ELj8EN6common25StripedToBlockedShuffleOpEiEvPT2_S3_b,@function
_Z20warp_exchange_kernelILj8ELj8EN6common25StripedToBlockedShuffleOpEiEvPT2_S3_b: ; @_Z20warp_exchange_kernelILj8ELj8EN6common25StripedToBlockedShuffleOpEiEvPT2_S3_b
; %bb.0:
	s_load_b128 s[4:7], s[2:3], 0x0
	v_and_b32_e32 v9, 0x3ff, v0
	s_load_b64 s[0:1], s[0:1], 0x4
	s_load_b32 s2, s[2:3], 0x10
	v_bfe_u32 v10, v0, 10, 10
	v_mbcnt_lo_u32_b32 v11, -1, 0
	v_lshlrev_b32_e32 v1, 5, v9
	v_bfe_u32 v0, v0, 20, 10
	s_waitcnt lgkmcnt(0)
	s_clause 0x1
	global_load_b128 v[5:8], v1, s[4:5]
	global_load_b128 v[1:4], v1, s[4:5] offset:16
	v_and_b32_e32 v13, 4, v11
	s_lshr_b32 s0, s0, 16
	v_mul_u32_u24_e32 v10, s1, v10
	s_mul_i32 s0, s0, s1
	v_and_b32_e32 v19, 2, v11
	v_mul_lo_u32 v12, s0, v9
	v_lshlrev_b32_e32 v14, 2, v13
	v_cmp_eq_u32_e32 vcc_lo, 0, v13
	v_and_b32_e32 v18, 1, v11
	s_and_b32 s0, s2, 1
	s_delay_alu instid0(VALU_DEP_3)
	v_xor_b32_e32 v23, 16, v14
	v_cndmask_b32_e64 v22, 4, 20, vcc_lo
	v_add3_u32 v10, v12, v10, v0
	v_lshlrev_b32_e32 v0, 3, v9
	v_cndmask_b32_e64 v21, 8, 24, vcc_lo
	v_cndmask_b32_e64 v20, 12, 28, vcc_lo
	s_cmp_eq_u32 s0, 0
	v_lshlrev_b32_e32 v17, 5, v10
	s_mov_b32 s0, -1
	s_cbranch_scc0 .LBB12_2
; %bb.1:
	s_delay_alu instid0(VALU_DEP_1)
	v_or_b32_e32 v9, v17, v23
	s_waitcnt vmcnt(1)
	ds_store_b128 v17, v[5:8]
	s_waitcnt vmcnt(0)
	ds_store_b128 v17, v[1:4] offset:16
	v_or_b32_e32 v11, v17, v22
	v_cmp_eq_u32_e32 vcc_lo, 0, v19
	ds_load_b32 v10, v9
	v_cndmask_b32_e64 v14, 16, 24, vcc_lo
	v_cndmask_b32_e64 v13, 4, 12, vcc_lo
	s_delay_alu instid0(VALU_DEP_2)
	v_or_b32_e32 v14, v17, v14
	s_waitcnt lgkmcnt(0)
	ds_swizzle_b32 v10, v10 offset:swizzle(SWAP,4)
	s_waitcnt lgkmcnt(0)
	ds_store_b32 v9, v10
	ds_load_b32 v9, v11
	v_or_b32_e32 v10, v17, v21
	s_waitcnt lgkmcnt(0)
	ds_swizzle_b32 v9, v9 offset:swizzle(SWAP,4)
	s_waitcnt lgkmcnt(0)
	ds_store_b32 v11, v9
	ds_load_b32 v9, v10
	;; [unrolled: 6-line block ×3, first 2 shown]
	v_lshlrev_b32_e32 v10, 2, v19
	s_delay_alu instid0(VALU_DEP_1) | instskip(NEXT) | instid1(VALU_DEP_1)
	v_xor_b32_e32 v10, 8, v10
	v_or_b32_e32 v10, v17, v10
	ds_load_b32 v12, v10
	s_waitcnt lgkmcnt(1)
	ds_swizzle_b32 v9, v9 offset:swizzle(SWAP,4)
	s_waitcnt lgkmcnt(1)
	ds_swizzle_b32 v12, v12 offset:swizzle(SWAP,2)
	s_waitcnt lgkmcnt(1)
	ds_store_b32 v11, v9
	ds_load_b32 v9, v14
	v_or_b32_e32 v11, v17, v13
	v_lshlrev_b32_e32 v13, 2, v18
	s_delay_alu instid0(VALU_DEP_1) | instskip(NEXT) | instid1(VALU_DEP_1)
	v_xor_b32_e32 v13, 4, v13
	v_or_b32_e32 v13, v17, v13
	s_waitcnt lgkmcnt(2)
	ds_store_b32 v10, v12
	ds_load_b32 v10, v11
	v_cndmask_b32_e64 v12, 20, 28, vcc_lo
	v_cmp_eq_u32_e32 vcc_lo, 0, v18
	s_waitcnt lgkmcnt(2)
	ds_swizzle_b32 v9, v9 offset:swizzle(SWAP,2)
	v_or_b32_e32 v12, v17, v12
	v_cndmask_b32_e64 v15, 16, 20, vcc_lo
	v_cndmask_b32_e64 v16, 24, 28, vcc_lo
	s_delay_alu instid0(VALU_DEP_2) | instskip(NEXT) | instid1(VALU_DEP_2)
	v_or_b32_e32 v15, v17, v15
	v_or_b32_e32 v16, v17, v16
	s_waitcnt lgkmcnt(0)
	ds_store_b32 v14, v9
	ds_load_b32 v9, v12
	ds_swizzle_b32 v10, v10 offset:swizzle(SWAP,2)
	v_cndmask_b32_e64 v14, 8, 12, vcc_lo
	s_delay_alu instid0(VALU_DEP_1)
	v_or_b32_e32 v14, v17, v14
	s_waitcnt lgkmcnt(1)
	ds_swizzle_b32 v9, v9 offset:swizzle(SWAP,2)
	s_waitcnt lgkmcnt(1)
	ds_store_b32 v11, v10
	ds_load_b32 v10, v13
	ds_load_b32 v11, v14
	s_waitcnt lgkmcnt(3)
	ds_store_b32 v12, v9
	s_waitcnt lgkmcnt(2)
	ds_swizzle_b32 v10, v10 offset:swizzle(SWAP,1)
	s_waitcnt lgkmcnt(2)
	ds_swizzle_b32 v11, v11 offset:swizzle(SWAP,1)
	ds_load_b32 v24, v15
	ds_load_b32 v25, v16
	s_waitcnt lgkmcnt(3)
	ds_store_b32 v13, v10
	s_waitcnt lgkmcnt(3)
	ds_store_b32 v14, v11
	s_waitcnt lgkmcnt(3)
	ds_swizzle_b32 v13, v24 offset:swizzle(SWAP,1)
	s_waitcnt lgkmcnt(3)
	ds_swizzle_b32 v14, v25 offset:swizzle(SWAP,1)
	ds_load_b128 v[9:12], v17
	s_waitcnt lgkmcnt(2)
	ds_store_b32 v15, v13
	s_waitcnt lgkmcnt(2)
	ds_store_b32 v16, v14
	ds_load_b128 v[13:16], v17 offset:16
	s_cbranch_execz .LBB12_3
	s_branch .LBB12_4
.LBB12_2:
                                        ; implicit-def: $vgpr16
                                        ; implicit-def: $vgpr12
	s_and_not1_b32 vcc_lo, exec_lo, s0
	s_cbranch_vccnz .LBB12_4
.LBB12_3:
	s_waitcnt lgkmcnt(3)
	v_add_nc_u32_e32 v9, 0x8000, v17
	s_waitcnt vmcnt(1)
	ds_store_b128 v17, v[5:8] offset:32768
	s_waitcnt vmcnt(0)
	ds_store_b128 v17, v[1:4] offset:32784
	v_cmp_eq_u32_e32 vcc_lo, 0, v19
	v_or_b32_e32 v10, v9, v23
	v_or_b32_e32 v2, v9, v22
	;; [unrolled: 1-line block ×3, first 2 shown]
	v_cndmask_b32_e64 v6, 16, 24, vcc_lo
	v_cndmask_b32_e64 v5, 4, 12, vcc_lo
	ds_load_b32 v1, v10
	v_or_b32_e32 v6, v9, v6
	s_waitcnt lgkmcnt(0)
	ds_swizzle_b32 v1, v1 offset:swizzle(SWAP,4)
	s_waitcnt lgkmcnt(0)
	ds_store_b32 v10, v1
	ds_load_b32 v1, v2
	s_waitcnt lgkmcnt(0)
	ds_swizzle_b32 v1, v1 offset:swizzle(SWAP,4)
	s_waitcnt lgkmcnt(0)
	ds_store_b32 v2, v1
	ds_load_b32 v1, v3
	v_or_b32_e32 v2, v9, v20
	s_waitcnt lgkmcnt(0)
	ds_swizzle_b32 v1, v1 offset:swizzle(SWAP,4)
	s_waitcnt lgkmcnt(0)
	ds_store_b32 v3, v1
	ds_load_b32 v1, v2
	v_lshlrev_b32_e32 v3, 2, v19
	s_delay_alu instid0(VALU_DEP_1) | instskip(NEXT) | instid1(VALU_DEP_1)
	v_xor_b32_e32 v3, 8, v3
	v_or_b32_e32 v3, v9, v3
	ds_load_b32 v4, v3
	s_waitcnt lgkmcnt(1)
	ds_swizzle_b32 v1, v1 offset:swizzle(SWAP,4)
	s_waitcnt lgkmcnt(1)
	ds_swizzle_b32 v4, v4 offset:swizzle(SWAP,2)
	s_waitcnt lgkmcnt(1)
	ds_store_b32 v2, v1
	ds_load_b32 v1, v6
	v_or_b32_e32 v2, v9, v5
	v_lshlrev_b32_e32 v5, 2, v18
	s_delay_alu instid0(VALU_DEP_1) | instskip(NEXT) | instid1(VALU_DEP_1)
	v_xor_b32_e32 v5, 4, v5
	v_or_b32_e32 v5, v9, v5
	s_waitcnt lgkmcnt(0)
	ds_swizzle_b32 v1, v1 offset:swizzle(SWAP,2)
	ds_store_b32 v3, v4
	ds_load_b32 v3, v2
	v_cndmask_b32_e64 v4, 20, 28, vcc_lo
	v_cmp_eq_u32_e32 vcc_lo, 0, v18
	s_delay_alu instid0(VALU_DEP_2) | instskip(SKIP_2) | instid1(VALU_DEP_2)
	v_or_b32_e32 v4, v9, v4
	v_cndmask_b32_e64 v7, 16, 20, vcc_lo
	v_cndmask_b32_e64 v8, 24, 28, vcc_lo
	v_or_b32_e32 v7, v9, v7
	s_delay_alu instid0(VALU_DEP_2)
	v_or_b32_e32 v8, v9, v8
	s_waitcnt lgkmcnt(2)
	ds_store_b32 v6, v1
	ds_load_b32 v1, v4
	s_waitcnt lgkmcnt(2)
	ds_swizzle_b32 v3, v3 offset:swizzle(SWAP,2)
	v_cndmask_b32_e64 v6, 8, 12, vcc_lo
	s_delay_alu instid0(VALU_DEP_1)
	v_or_b32_e32 v6, v9, v6
	s_waitcnt lgkmcnt(1)
	ds_swizzle_b32 v1, v1 offset:swizzle(SWAP,2)
	s_waitcnt lgkmcnt(1)
	ds_store_b32 v2, v3
	ds_load_b32 v2, v5
	ds_load_b32 v3, v6
	s_waitcnt lgkmcnt(3)
	ds_store_b32 v4, v1
	s_waitcnt lgkmcnt(2)
	ds_swizzle_b32 v2, v2 offset:swizzle(SWAP,1)
	ds_load_b32 v1, v7
	ds_load_b32 v4, v8
	s_waitcnt lgkmcnt(4)
	ds_swizzle_b32 v3, v3 offset:swizzle(SWAP,1)
	s_waitcnt lgkmcnt(3)
	ds_store_b32 v5, v2
	s_waitcnt lgkmcnt(1)
	ds_store_b32 v6, v3
	ds_swizzle_b32 v1, v1 offset:swizzle(SWAP,1)
	ds_swizzle_b32 v2, v4 offset:swizzle(SWAP,1)
	ds_load_b128 v[9:12], v17 offset:32768
	s_waitcnt lgkmcnt(2)
	ds_store_b32 v7, v1
	s_waitcnt lgkmcnt(2)
	ds_store_b32 v8, v2
	ds_load_b128 v[13:16], v17 offset:32784
.LBB12_4:
	v_lshlrev_b32_e32 v0, 2, v0
	s_waitcnt lgkmcnt(3)
	global_store_b128 v0, v[9:12], s[6:7]
	s_waitcnt lgkmcnt(0)
	global_store_b128 v0, v[13:16], s[6:7] offset:16
	s_nop 0
	s_sendmsg sendmsg(MSG_DEALLOC_VGPRS)
	s_endpgm
	.section	.rodata,"a",@progbits
	.p2align	6, 0x0
	.amdhsa_kernel _Z20warp_exchange_kernelILj8ELj8EN6common25StripedToBlockedShuffleOpEiEvPT2_S3_b
		.amdhsa_group_segment_fixed_size 65536
		.amdhsa_private_segment_fixed_size 0
		.amdhsa_kernarg_size 20
		.amdhsa_user_sgpr_count 15
		.amdhsa_user_sgpr_dispatch_ptr 1
		.amdhsa_user_sgpr_queue_ptr 0
		.amdhsa_user_sgpr_kernarg_segment_ptr 1
		.amdhsa_user_sgpr_dispatch_id 0
		.amdhsa_user_sgpr_private_segment_size 0
		.amdhsa_wavefront_size32 1
		.amdhsa_uses_dynamic_stack 0
		.amdhsa_enable_private_segment 0
		.amdhsa_system_sgpr_workgroup_id_x 1
		.amdhsa_system_sgpr_workgroup_id_y 0
		.amdhsa_system_sgpr_workgroup_id_z 0
		.amdhsa_system_sgpr_workgroup_info 0
		.amdhsa_system_vgpr_workitem_id 2
		.amdhsa_next_free_vgpr 26
		.amdhsa_next_free_sgpr 8
		.amdhsa_reserve_vcc 1
		.amdhsa_float_round_mode_32 0
		.amdhsa_float_round_mode_16_64 0
		.amdhsa_float_denorm_mode_32 3
		.amdhsa_float_denorm_mode_16_64 3
		.amdhsa_dx10_clamp 1
		.amdhsa_ieee_mode 1
		.amdhsa_fp16_overflow 0
		.amdhsa_workgroup_processor_mode 1
		.amdhsa_memory_ordered 1
		.amdhsa_forward_progress 0
		.amdhsa_shared_vgpr_count 0
		.amdhsa_exception_fp_ieee_invalid_op 0
		.amdhsa_exception_fp_denorm_src 0
		.amdhsa_exception_fp_ieee_div_zero 0
		.amdhsa_exception_fp_ieee_overflow 0
		.amdhsa_exception_fp_ieee_underflow 0
		.amdhsa_exception_fp_ieee_inexact 0
		.amdhsa_exception_int_div_zero 0
	.end_amdhsa_kernel
	.section	.text._Z20warp_exchange_kernelILj8ELj8EN6common25StripedToBlockedShuffleOpEiEvPT2_S3_b,"axG",@progbits,_Z20warp_exchange_kernelILj8ELj8EN6common25StripedToBlockedShuffleOpEiEvPT2_S3_b,comdat
.Lfunc_end12:
	.size	_Z20warp_exchange_kernelILj8ELj8EN6common25StripedToBlockedShuffleOpEiEvPT2_S3_b, .Lfunc_end12-_Z20warp_exchange_kernelILj8ELj8EN6common25StripedToBlockedShuffleOpEiEvPT2_S3_b
                                        ; -- End function
	.section	.AMDGPU.csdata,"",@progbits
; Kernel info:
; codeLenInByte = 1372
; NumSgprs: 10
; NumVgprs: 26
; ScratchSize: 0
; MemoryBound: 0
; FloatMode: 240
; IeeeMode: 1
; LDSByteSize: 65536 bytes/workgroup (compile time only)
; SGPRBlocks: 1
; VGPRBlocks: 3
; NumSGPRsForWavesPerEU: 10
; NumVGPRsForWavesPerEU: 26
; Occupancy: 16
; WaveLimiterHint : 0
; COMPUTE_PGM_RSRC2:SCRATCH_EN: 0
; COMPUTE_PGM_RSRC2:USER_SGPR: 15
; COMPUTE_PGM_RSRC2:TRAP_HANDLER: 0
; COMPUTE_PGM_RSRC2:TGID_X_EN: 1
; COMPUTE_PGM_RSRC2:TGID_Y_EN: 0
; COMPUTE_PGM_RSRC2:TGID_Z_EN: 0
; COMPUTE_PGM_RSRC2:TIDIG_COMP_CNT: 2
	.section	.text._Z20warp_exchange_kernelILj4ELj8EN6common25StripedToBlockedShuffleOpE12hip_bfloat16EvPT2_S4_b,"axG",@progbits,_Z20warp_exchange_kernelILj4ELj8EN6common25StripedToBlockedShuffleOpE12hip_bfloat16EvPT2_S4_b,comdat
	.protected	_Z20warp_exchange_kernelILj4ELj8EN6common25StripedToBlockedShuffleOpE12hip_bfloat16EvPT2_S4_b ; -- Begin function _Z20warp_exchange_kernelILj4ELj8EN6common25StripedToBlockedShuffleOpE12hip_bfloat16EvPT2_S4_b
	.globl	_Z20warp_exchange_kernelILj4ELj8EN6common25StripedToBlockedShuffleOpE12hip_bfloat16EvPT2_S4_b
	.p2align	8
	.type	_Z20warp_exchange_kernelILj4ELj8EN6common25StripedToBlockedShuffleOpE12hip_bfloat16EvPT2_S4_b,@function
_Z20warp_exchange_kernelILj4ELj8EN6common25StripedToBlockedShuffleOpE12hip_bfloat16EvPT2_S4_b: ; @_Z20warp_exchange_kernelILj4ELj8EN6common25StripedToBlockedShuffleOpE12hip_bfloat16EvPT2_S4_b
; %bb.0:
	s_load_b128 s[4:7], s[2:3], 0x0
	v_and_b32_e32 v3, 0x3ff, v0
	s_load_b64 s[0:1], s[0:1], 0x4
	s_load_b32 s2, s[2:3], 0x10
	v_bfe_u32 v4, v0, 10, 10
	v_mbcnt_lo_u32_b32 v5, -1, 0
	v_lshlrev_b32_e32 v1, 3, v3
	v_bfe_u32 v8, v0, 20, 10
	v_lshlrev_b32_e32 v0, 2, v3
	s_delay_alu instid0(VALU_DEP_4) | instskip(SKIP_2) | instid1(VALU_DEP_3)
	v_lshlrev_b32_e32 v9, 2, v5
	v_bfe_u32 v10, v5, 2, 1
	v_and_b32_e32 v7, 3, v5
	v_xor_b32_e32 v9, 16, v9
	s_delay_alu instid0(VALU_DEP_3)
	v_xor_b32_e32 v12, 1, v10
	v_xor_b32_e32 v11, 3, v10
	s_waitcnt lgkmcnt(0)
	global_load_b64 v[1:2], v1, s[4:5]
	s_lshr_b32 s0, s0, 16
	v_mul_u32_u24_e32 v4, s1, v4
	s_mul_i32 s0, s0, s1
	s_delay_alu instid0(SALU_CYCLE_1) | instskip(SKIP_1) | instid1(SALU_CYCLE_1)
	v_mul_lo_u32 v6, s0, v3
	s_and_b32 s0, s2, 1
	s_cmp_eq_u32 s0, 0
	s_mov_b32 s0, -1
	s_delay_alu instid0(VALU_DEP_1) | instskip(SKIP_1) | instid1(VALU_DEP_2)
	v_add3_u32 v3, v6, v4, v8
	v_add_nc_u32_e32 v8, -1, v5
	v_lshlrev_b32_e32 v6, 3, v3
	s_waitcnt vmcnt(0)
	v_and_b32_e32 v13, 0xffff, v2
	v_lshrrev_b32_e32 v14, 16, v2
	s_cbranch_scc0 .LBB13_2
; %bb.1:
	ds_bpermute_b32 v3, v9, v13
	ds_bpermute_b32 v4, v9, v14
	v_add_nc_u32_e32 v5, 0x2000, v6
	v_lshl_or_b32 v19, v7, 1, v6
	s_delay_alu instid0(VALU_DEP_2)
	v_lshl_or_b32 v15, v10, 1, v5
	v_lshl_or_b32 v16, v12, 1, v5
	;; [unrolled: 1-line block ×3, first 2 shown]
	ds_store_2addr_b32 v5, v1, v2 offset1:1
	ds_store_b16 v15, v1
	ds_store_b16_d16_hi v15, v1 offset:4
	s_waitcnt lgkmcnt(4)
	ds_store_b16 v16, v3
	s_waitcnt lgkmcnt(4)
	ds_store_b16 v17, v4
	ds_load_2addr_b32 v[3:4], v5 offset1:1
	v_xor_b32_e32 v16, 2, v7
	v_and_b32_e32 v17, 3, v8
	s_delay_alu instid0(VALU_DEP_2) | instskip(NEXT) | instid1(VALU_DEP_2)
	v_add_nc_u32_e32 v18, -1, v16
	v_lshl_or_b32 v17, v17, 1, v6
	v_lshl_or_b32 v16, v16, 1, v6
	s_delay_alu instid0(VALU_DEP_3) | instskip(NEXT) | instid1(VALU_DEP_1)
	v_and_b32_e32 v18, 3, v18
	v_lshl_or_b32 v18, v18, 1, v6
	s_waitcnt lgkmcnt(0)
	v_lshrrev_b32_e32 v5, 16, v3
	v_lshrrev_b32_e32 v15, 16, v4
	v_and_b32_e32 v4, 0xffff, v4
	ds_bpermute_b32 v5, v9, v5
	ds_bpermute_b32 v15, v9, v15
	v_mov_b32_dpp v4, v4 quad_perm:[2,3,0,1] row_mask:0xf bank_mask:0xf
	s_waitcnt lgkmcnt(1)
	v_and_b32_e32 v5, 0xffff, v5
	s_waitcnt lgkmcnt(0)
	v_and_b32_e32 v15, 0xffff, v15
	s_delay_alu instid0(VALU_DEP_2) | instskip(NEXT) | instid1(VALU_DEP_2)
	v_mov_b32_dpp v5, v5 quad_perm:[3,0,1,2] row_mask:0xf bank_mask:0xf
	v_mov_b32_dpp v15, v15 quad_perm:[1,2,3,0] row_mask:0xf bank_mask:0xf
	ds_store_b16 v19, v3
	ds_store_b16 v17, v5
	;; [unrolled: 1-line block ×4, first 2 shown]
	ds_load_b64 v[3:4], v6
	s_waitcnt lgkmcnt(0)
	v_lshrrev_b32_e32 v5, 16, v3
	v_and_b32_e32 v15, 0xffff, v4
	v_lshrrev_b32_e32 v16, 16, v4
	s_delay_alu instid0(VALU_DEP_3) | instskip(NEXT) | instid1(VALU_DEP_3)
	v_mov_b32_dpp v4, v5 quad_perm:[1,2,3,0] row_mask:0xf bank_mask:0xf
	v_mov_b32_dpp v5, v15 quad_perm:[2,3,0,1] row_mask:0xf bank_mask:0xf
	s_delay_alu instid0(VALU_DEP_3)
	v_mov_b32_dpp v15, v16 quad_perm:[3,0,1,2] row_mask:0xf bank_mask:0xf
	s_cbranch_execz .LBB13_3
	s_branch .LBB13_4
.LBB13_2:
                                        ; implicit-def: $vgpr15
                                        ; implicit-def: $vgpr3
                                        ; implicit-def: $vgpr4_vgpr5
	s_and_not1_b32 vcc_lo, exec_lo, s0
	s_cbranch_vccnz .LBB13_4
.LBB13_3:
	ds_bpermute_b32 v3, v9, v13
	ds_bpermute_b32 v4, v9, v14
	v_add_nc_u32_e32 v5, 0x6000, v6
	v_and_b32_e32 v8, 3, v8
	s_delay_alu instid0(VALU_DEP_2)
	v_lshl_or_b32 v10, v10, 1, v5
	v_lshl_or_b32 v12, v12, 1, v5
	;; [unrolled: 1-line block ×3, first 2 shown]
	ds_store_2addr_b32 v5, v1, v2 offset1:1
	ds_store_b16 v10, v1
	ds_store_b16_d16_hi v10, v1 offset:4
	s_waitcnt lgkmcnt(4)
	ds_store_b16 v12, v3
	s_waitcnt lgkmcnt(4)
	ds_store_b16 v11, v4
	ds_load_2addr_b32 v[1:2], v5 offset1:1
	v_xor_b32_e32 v5, 2, v7
	s_delay_alu instid0(VALU_DEP_1) | instskip(NEXT) | instid1(VALU_DEP_1)
	v_add_nc_u32_e32 v10, -1, v5
	v_and_b32_e32 v10, 3, v10
	s_waitcnt lgkmcnt(0)
	v_lshrrev_b32_e32 v3, 16, v1
	v_lshrrev_b32_e32 v4, 16, v2
	v_and_b32_e32 v2, 0xffff, v2
	ds_bpermute_b32 v3, v9, v3
	ds_bpermute_b32 v4, v9, v4
	v_add_nc_u32_e32 v9, 0x4000, v6
	v_mov_b32_dpp v2, v2 quad_perm:[2,3,0,1] row_mask:0xf bank_mask:0xf
	s_delay_alu instid0(VALU_DEP_2)
	v_lshl_or_b32 v7, v7, 1, v9
	v_lshl_or_b32 v8, v8, 1, v9
	;; [unrolled: 1-line block ×4, first 2 shown]
	s_waitcnt lgkmcnt(1)
	v_and_b32_e32 v3, 0xffff, v3
	s_waitcnt lgkmcnt(0)
	v_and_b32_e32 v4, 0xffff, v4
	s_delay_alu instid0(VALU_DEP_2) | instskip(NEXT) | instid1(VALU_DEP_2)
	v_mov_b32_dpp v3, v3 quad_perm:[3,0,1,2] row_mask:0xf bank_mask:0xf
	v_mov_b32_dpp v4, v4 quad_perm:[1,2,3,0] row_mask:0xf bank_mask:0xf
	ds_store_b16 v7, v1
	ds_store_b16 v8, v3
	;; [unrolled: 1-line block ×4, first 2 shown]
	ds_load_b64 v[3:4], v6 offset:16384
	s_waitcnt lgkmcnt(0)
	v_lshrrev_b32_e32 v1, 16, v3
	v_and_b32_e32 v2, 0xffff, v4
	v_lshrrev_b32_e32 v6, 16, v4
	s_delay_alu instid0(VALU_DEP_3) | instskip(NEXT) | instid1(VALU_DEP_3)
	v_mov_b32_dpp v4, v1 quad_perm:[1,2,3,0] row_mask:0xf bank_mask:0xf
	v_mov_b32_dpp v5, v2 quad_perm:[2,3,0,1] row_mask:0xf bank_mask:0xf
	s_delay_alu instid0(VALU_DEP_3)
	v_mov_b32_dpp v15, v6 quad_perm:[3,0,1,2] row_mask:0xf bank_mask:0xf
.LBB13_4:
	v_lshlrev_b32_e32 v2, 1, v0
	s_delay_alu instid0(VALU_DEP_4) | instskip(NEXT) | instid1(VALU_DEP_3)
	v_perm_b32 v0, v4, v3, 0x5040100
	v_perm_b32 v1, v15, v5, 0x5040100
	global_store_b64 v2, v[0:1], s[6:7]
	s_nop 0
	s_sendmsg sendmsg(MSG_DEALLOC_VGPRS)
	s_endpgm
	.section	.rodata,"a",@progbits
	.p2align	6, 0x0
	.amdhsa_kernel _Z20warp_exchange_kernelILj4ELj8EN6common25StripedToBlockedShuffleOpE12hip_bfloat16EvPT2_S4_b
		.amdhsa_group_segment_fixed_size 32768
		.amdhsa_private_segment_fixed_size 0
		.amdhsa_kernarg_size 20
		.amdhsa_user_sgpr_count 15
		.amdhsa_user_sgpr_dispatch_ptr 1
		.amdhsa_user_sgpr_queue_ptr 0
		.amdhsa_user_sgpr_kernarg_segment_ptr 1
		.amdhsa_user_sgpr_dispatch_id 0
		.amdhsa_user_sgpr_private_segment_size 0
		.amdhsa_wavefront_size32 1
		.amdhsa_uses_dynamic_stack 0
		.amdhsa_enable_private_segment 0
		.amdhsa_system_sgpr_workgroup_id_x 1
		.amdhsa_system_sgpr_workgroup_id_y 0
		.amdhsa_system_sgpr_workgroup_id_z 0
		.amdhsa_system_sgpr_workgroup_info 0
		.amdhsa_system_vgpr_workitem_id 2
		.amdhsa_next_free_vgpr 20
		.amdhsa_next_free_sgpr 8
		.amdhsa_reserve_vcc 1
		.amdhsa_float_round_mode_32 0
		.amdhsa_float_round_mode_16_64 0
		.amdhsa_float_denorm_mode_32 3
		.amdhsa_float_denorm_mode_16_64 3
		.amdhsa_dx10_clamp 1
		.amdhsa_ieee_mode 1
		.amdhsa_fp16_overflow 0
		.amdhsa_workgroup_processor_mode 1
		.amdhsa_memory_ordered 1
		.amdhsa_forward_progress 0
		.amdhsa_shared_vgpr_count 0
		.amdhsa_exception_fp_ieee_invalid_op 0
		.amdhsa_exception_fp_denorm_src 0
		.amdhsa_exception_fp_ieee_div_zero 0
		.amdhsa_exception_fp_ieee_overflow 0
		.amdhsa_exception_fp_ieee_underflow 0
		.amdhsa_exception_fp_ieee_inexact 0
		.amdhsa_exception_int_div_zero 0
	.end_amdhsa_kernel
	.section	.text._Z20warp_exchange_kernelILj4ELj8EN6common25StripedToBlockedShuffleOpE12hip_bfloat16EvPT2_S4_b,"axG",@progbits,_Z20warp_exchange_kernelILj4ELj8EN6common25StripedToBlockedShuffleOpE12hip_bfloat16EvPT2_S4_b,comdat
.Lfunc_end13:
	.size	_Z20warp_exchange_kernelILj4ELj8EN6common25StripedToBlockedShuffleOpE12hip_bfloat16EvPT2_S4_b, .Lfunc_end13-_Z20warp_exchange_kernelILj4ELj8EN6common25StripedToBlockedShuffleOpE12hip_bfloat16EvPT2_S4_b
                                        ; -- End function
	.section	.AMDGPU.csdata,"",@progbits
; Kernel info:
; codeLenInByte = 952
; NumSgprs: 10
; NumVgprs: 20
; ScratchSize: 0
; MemoryBound: 0
; FloatMode: 240
; IeeeMode: 1
; LDSByteSize: 32768 bytes/workgroup (compile time only)
; SGPRBlocks: 1
; VGPRBlocks: 2
; NumSGPRsForWavesPerEU: 10
; NumVGPRsForWavesPerEU: 20
; Occupancy: 16
; WaveLimiterHint : 0
; COMPUTE_PGM_RSRC2:SCRATCH_EN: 0
; COMPUTE_PGM_RSRC2:USER_SGPR: 15
; COMPUTE_PGM_RSRC2:TRAP_HANDLER: 0
; COMPUTE_PGM_RSRC2:TGID_X_EN: 1
; COMPUTE_PGM_RSRC2:TGID_Y_EN: 0
; COMPUTE_PGM_RSRC2:TGID_Z_EN: 0
; COMPUTE_PGM_RSRC2:TIDIG_COMP_CNT: 2
	.section	.text._Z20warp_exchange_kernelILj4ELj64EN6common25StripedToBlockedShuffleOpEdEvPT2_S3_b,"axG",@progbits,_Z20warp_exchange_kernelILj4ELj64EN6common25StripedToBlockedShuffleOpEdEvPT2_S3_b,comdat
	.protected	_Z20warp_exchange_kernelILj4ELj64EN6common25StripedToBlockedShuffleOpEdEvPT2_S3_b ; -- Begin function _Z20warp_exchange_kernelILj4ELj64EN6common25StripedToBlockedShuffleOpEdEvPT2_S3_b
	.globl	_Z20warp_exchange_kernelILj4ELj64EN6common25StripedToBlockedShuffleOpEdEvPT2_S3_b
	.p2align	8
	.type	_Z20warp_exchange_kernelILj4ELj64EN6common25StripedToBlockedShuffleOpEdEvPT2_S3_b,@function
_Z20warp_exchange_kernelILj4ELj64EN6common25StripedToBlockedShuffleOpEdEvPT2_S3_b: ; @_Z20warp_exchange_kernelILj4ELj64EN6common25StripedToBlockedShuffleOpEdEvPT2_S3_b
; %bb.0:
	s_endpgm
	.section	.rodata,"a",@progbits
	.p2align	6, 0x0
	.amdhsa_kernel _Z20warp_exchange_kernelILj4ELj64EN6common25StripedToBlockedShuffleOpEdEvPT2_S3_b
		.amdhsa_group_segment_fixed_size 0
		.amdhsa_private_segment_fixed_size 0
		.amdhsa_kernarg_size 20
		.amdhsa_user_sgpr_count 15
		.amdhsa_user_sgpr_dispatch_ptr 0
		.amdhsa_user_sgpr_queue_ptr 0
		.amdhsa_user_sgpr_kernarg_segment_ptr 1
		.amdhsa_user_sgpr_dispatch_id 0
		.amdhsa_user_sgpr_private_segment_size 0
		.amdhsa_wavefront_size32 1
		.amdhsa_uses_dynamic_stack 0
		.amdhsa_enable_private_segment 0
		.amdhsa_system_sgpr_workgroup_id_x 1
		.amdhsa_system_sgpr_workgroup_id_y 0
		.amdhsa_system_sgpr_workgroup_id_z 0
		.amdhsa_system_sgpr_workgroup_info 0
		.amdhsa_system_vgpr_workitem_id 0
		.amdhsa_next_free_vgpr 1
		.amdhsa_next_free_sgpr 1
		.amdhsa_reserve_vcc 0
		.amdhsa_float_round_mode_32 0
		.amdhsa_float_round_mode_16_64 0
		.amdhsa_float_denorm_mode_32 3
		.amdhsa_float_denorm_mode_16_64 3
		.amdhsa_dx10_clamp 1
		.amdhsa_ieee_mode 1
		.amdhsa_fp16_overflow 0
		.amdhsa_workgroup_processor_mode 1
		.amdhsa_memory_ordered 1
		.amdhsa_forward_progress 0
		.amdhsa_shared_vgpr_count 0
		.amdhsa_exception_fp_ieee_invalid_op 0
		.amdhsa_exception_fp_denorm_src 0
		.amdhsa_exception_fp_ieee_div_zero 0
		.amdhsa_exception_fp_ieee_overflow 0
		.amdhsa_exception_fp_ieee_underflow 0
		.amdhsa_exception_fp_ieee_inexact 0
		.amdhsa_exception_int_div_zero 0
	.end_amdhsa_kernel
	.section	.text._Z20warp_exchange_kernelILj4ELj64EN6common25StripedToBlockedShuffleOpEdEvPT2_S3_b,"axG",@progbits,_Z20warp_exchange_kernelILj4ELj64EN6common25StripedToBlockedShuffleOpEdEvPT2_S3_b,comdat
.Lfunc_end14:
	.size	_Z20warp_exchange_kernelILj4ELj64EN6common25StripedToBlockedShuffleOpEdEvPT2_S3_b, .Lfunc_end14-_Z20warp_exchange_kernelILj4ELj64EN6common25StripedToBlockedShuffleOpEdEvPT2_S3_b
                                        ; -- End function
	.section	.AMDGPU.csdata,"",@progbits
; Kernel info:
; codeLenInByte = 4
; NumSgprs: 0
; NumVgprs: 0
; ScratchSize: 0
; MemoryBound: 0
; FloatMode: 240
; IeeeMode: 1
; LDSByteSize: 0 bytes/workgroup (compile time only)
; SGPRBlocks: 0
; VGPRBlocks: 0
; NumSGPRsForWavesPerEU: 1
; NumVGPRsForWavesPerEU: 1
; Occupancy: 16
; WaveLimiterHint : 0
; COMPUTE_PGM_RSRC2:SCRATCH_EN: 0
; COMPUTE_PGM_RSRC2:USER_SGPR: 15
; COMPUTE_PGM_RSRC2:TRAP_HANDLER: 0
; COMPUTE_PGM_RSRC2:TGID_X_EN: 1
; COMPUTE_PGM_RSRC2:TGID_Y_EN: 0
; COMPUTE_PGM_RSRC2:TGID_Z_EN: 0
; COMPUTE_PGM_RSRC2:TIDIG_COMP_CNT: 0
	.section	.text._Z20warp_exchange_kernelILj4ELj32EN6common25StripedToBlockedShuffleOpEfEvPT2_S3_b,"axG",@progbits,_Z20warp_exchange_kernelILj4ELj32EN6common25StripedToBlockedShuffleOpEfEvPT2_S3_b,comdat
	.protected	_Z20warp_exchange_kernelILj4ELj32EN6common25StripedToBlockedShuffleOpEfEvPT2_S3_b ; -- Begin function _Z20warp_exchange_kernelILj4ELj32EN6common25StripedToBlockedShuffleOpEfEvPT2_S3_b
	.globl	_Z20warp_exchange_kernelILj4ELj32EN6common25StripedToBlockedShuffleOpEfEvPT2_S3_b
	.p2align	8
	.type	_Z20warp_exchange_kernelILj4ELj32EN6common25StripedToBlockedShuffleOpEfEvPT2_S3_b,@function
_Z20warp_exchange_kernelILj4ELj32EN6common25StripedToBlockedShuffleOpEfEvPT2_S3_b: ; @_Z20warp_exchange_kernelILj4ELj32EN6common25StripedToBlockedShuffleOpEfEvPT2_S3_b
; %bb.0:
	s_clause 0x1
	s_load_b128 s[4:7], s[0:1], 0x0
	s_load_b32 s3, s[0:1], 0x10
	v_lshlrev_b32_e32 v1, 4, v0
	v_mbcnt_lo_u32_b32 v5, -1, 0
	v_lshlrev_b32_e32 v0, 2, v0
	s_delay_alu instid0(VALU_DEP_2) | instskip(SKIP_1) | instid1(VALU_DEP_2)
	v_lshlrev_b32_e32 v6, 4, v5
	v_lshrrev_b32_e32 v5, 3, v5
	v_and_b32_e32 v9, 0x70, v6
	s_delay_alu instid0(VALU_DEP_2) | instskip(SKIP_2) | instid1(VALU_DEP_4)
	v_cmp_eq_u32_e64 s0, 3, v5
	v_cmp_eq_u32_e64 s1, 2, v5
	;; [unrolled: 1-line block ×3, first 2 shown]
	v_or_b32_e32 v10, 4, v9
	s_waitcnt lgkmcnt(0)
	global_load_b128 v[1:4], v1, s[4:5]
	s_bitcmp0_b32 s3, 0
	s_mov_b32 s3, -1
	s_cbranch_scc0 .LBB15_2
; %bb.1:
	s_waitcnt vmcnt(0)
	ds_bpermute_b32 v5, v9, v1
	ds_bpermute_b32 v6, v9, v2
	;; [unrolled: 1-line block ×4, first 2 shown]
	ds_bpermute_b32 v11, v9, v1 offset:8
	ds_bpermute_b32 v12, v9, v2 offset:8
	;; [unrolled: 1-line block ×4, first 2 shown]
	ds_bpermute_b32 v15, v9, v3
	ds_bpermute_b32 v16, v10, v3
	ds_bpermute_b32 v17, v9, v3 offset:8
	ds_bpermute_b32 v18, v9, v3 offset:12
	ds_bpermute_b32 v19, v9, v4
	ds_bpermute_b32 v20, v10, v4
	ds_bpermute_b32 v21, v9, v4 offset:8
	ds_bpermute_b32 v22, v9, v4 offset:12
	s_waitcnt lgkmcnt(14)
	v_cndmask_b32_e64 v5, v5, v6, s2
	s_waitcnt lgkmcnt(12)
	v_cndmask_b32_e64 v6, v7, v8, s2
	s_waitcnt lgkmcnt(10)
	v_cndmask_b32_e64 v7, v11, v12, s2
	s_waitcnt lgkmcnt(8)
	v_cndmask_b32_e64 v8, v13, v14, s2
	s_waitcnt lgkmcnt(7)
	v_cndmask_b32_e64 v5, v5, v15, s1
	s_waitcnt lgkmcnt(6)
	v_cndmask_b32_e64 v6, v6, v16, s1
	s_waitcnt lgkmcnt(5)
	v_cndmask_b32_e64 v7, v7, v17, s1
	s_waitcnt lgkmcnt(4)
	v_cndmask_b32_e64 v8, v8, v18, s1
	s_waitcnt lgkmcnt(3)
	v_cndmask_b32_e64 v5, v5, v19, s0
	s_waitcnt lgkmcnt(2)
	v_cndmask_b32_e64 v6, v6, v20, s0
	s_waitcnt lgkmcnt(1)
	v_cndmask_b32_e64 v7, v7, v21, s0
	s_waitcnt lgkmcnt(0)
	v_cndmask_b32_e64 v8, v8, v22, s0
	s_cbranch_execz .LBB15_3
	s_branch .LBB15_4
.LBB15_2:
                                        ; implicit-def: $vgpr5_vgpr6_vgpr7_vgpr8
	s_and_not1_b32 vcc_lo, exec_lo, s3
	s_cbranch_vccnz .LBB15_4
.LBB15_3:
	s_waitcnt vmcnt(0)
	ds_bpermute_b32 v5, v9, v1
	ds_bpermute_b32 v6, v9, v2
	;; [unrolled: 1-line block ×4, first 2 shown]
	ds_bpermute_b32 v11, v9, v1 offset:8
	ds_bpermute_b32 v12, v9, v2 offset:8
	;; [unrolled: 1-line block ×4, first 2 shown]
	ds_bpermute_b32 v13, v9, v3
	ds_bpermute_b32 v14, v10, v3
	ds_bpermute_b32 v15, v9, v3 offset:8
	ds_bpermute_b32 v3, v9, v3 offset:12
	ds_bpermute_b32 v16, v9, v4
	ds_bpermute_b32 v10, v10, v4
	ds_bpermute_b32 v17, v9, v4 offset:8
	ds_bpermute_b32 v4, v9, v4 offset:12
	s_waitcnt lgkmcnt(14)
	v_cndmask_b32_e64 v5, v5, v6, s2
	s_waitcnt lgkmcnt(12)
	v_cndmask_b32_e64 v6, v7, v8, s2
	;; [unrolled: 2-line block ×12, first 2 shown]
.LBB15_4:
	v_lshlrev_b32_e32 v0, 2, v0
	global_store_b128 v0, v[5:8], s[6:7]
	s_nop 0
	s_sendmsg sendmsg(MSG_DEALLOC_VGPRS)
	s_endpgm
	.section	.rodata,"a",@progbits
	.p2align	6, 0x0
	.amdhsa_kernel _Z20warp_exchange_kernelILj4ELj32EN6common25StripedToBlockedShuffleOpEfEvPT2_S3_b
		.amdhsa_group_segment_fixed_size 0
		.amdhsa_private_segment_fixed_size 0
		.amdhsa_kernarg_size 20
		.amdhsa_user_sgpr_count 15
		.amdhsa_user_sgpr_dispatch_ptr 0
		.amdhsa_user_sgpr_queue_ptr 0
		.amdhsa_user_sgpr_kernarg_segment_ptr 1
		.amdhsa_user_sgpr_dispatch_id 0
		.amdhsa_user_sgpr_private_segment_size 0
		.amdhsa_wavefront_size32 1
		.amdhsa_uses_dynamic_stack 0
		.amdhsa_enable_private_segment 0
		.amdhsa_system_sgpr_workgroup_id_x 1
		.amdhsa_system_sgpr_workgroup_id_y 0
		.amdhsa_system_sgpr_workgroup_id_z 0
		.amdhsa_system_sgpr_workgroup_info 0
		.amdhsa_system_vgpr_workitem_id 0
		.amdhsa_next_free_vgpr 23
		.amdhsa_next_free_sgpr 8
		.amdhsa_reserve_vcc 1
		.amdhsa_float_round_mode_32 0
		.amdhsa_float_round_mode_16_64 0
		.amdhsa_float_denorm_mode_32 3
		.amdhsa_float_denorm_mode_16_64 3
		.amdhsa_dx10_clamp 1
		.amdhsa_ieee_mode 1
		.amdhsa_fp16_overflow 0
		.amdhsa_workgroup_processor_mode 1
		.amdhsa_memory_ordered 1
		.amdhsa_forward_progress 0
		.amdhsa_shared_vgpr_count 0
		.amdhsa_exception_fp_ieee_invalid_op 0
		.amdhsa_exception_fp_denorm_src 0
		.amdhsa_exception_fp_ieee_div_zero 0
		.amdhsa_exception_fp_ieee_overflow 0
		.amdhsa_exception_fp_ieee_underflow 0
		.amdhsa_exception_fp_ieee_inexact 0
		.amdhsa_exception_int_div_zero 0
	.end_amdhsa_kernel
	.section	.text._Z20warp_exchange_kernelILj4ELj32EN6common25StripedToBlockedShuffleOpEfEvPT2_S3_b,"axG",@progbits,_Z20warp_exchange_kernelILj4ELj32EN6common25StripedToBlockedShuffleOpEfEvPT2_S3_b,comdat
.Lfunc_end15:
	.size	_Z20warp_exchange_kernelILj4ELj32EN6common25StripedToBlockedShuffleOpEfEvPT2_S3_b, .Lfunc_end15-_Z20warp_exchange_kernelILj4ELj32EN6common25StripedToBlockedShuffleOpEfEvPT2_S3_b
                                        ; -- End function
	.section	.AMDGPU.csdata,"",@progbits
; Kernel info:
; codeLenInByte = 704
; NumSgprs: 10
; NumVgprs: 23
; ScratchSize: 0
; MemoryBound: 0
; FloatMode: 240
; IeeeMode: 1
; LDSByteSize: 0 bytes/workgroup (compile time only)
; SGPRBlocks: 1
; VGPRBlocks: 2
; NumSGPRsForWavesPerEU: 10
; NumVGPRsForWavesPerEU: 23
; Occupancy: 16
; WaveLimiterHint : 0
; COMPUTE_PGM_RSRC2:SCRATCH_EN: 0
; COMPUTE_PGM_RSRC2:USER_SGPR: 15
; COMPUTE_PGM_RSRC2:TRAP_HANDLER: 0
; COMPUTE_PGM_RSRC2:TGID_X_EN: 1
; COMPUTE_PGM_RSRC2:TGID_Y_EN: 0
; COMPUTE_PGM_RSRC2:TGID_Z_EN: 0
; COMPUTE_PGM_RSRC2:TIDIG_COMP_CNT: 0
	.section	.text._Z20warp_exchange_kernelILj4ELj8EN6common25StripedToBlockedShuffleOpElEvPT2_S3_b,"axG",@progbits,_Z20warp_exchange_kernelILj4ELj8EN6common25StripedToBlockedShuffleOpElEvPT2_S3_b,comdat
	.protected	_Z20warp_exchange_kernelILj4ELj8EN6common25StripedToBlockedShuffleOpElEvPT2_S3_b ; -- Begin function _Z20warp_exchange_kernelILj4ELj8EN6common25StripedToBlockedShuffleOpElEvPT2_S3_b
	.globl	_Z20warp_exchange_kernelILj4ELj8EN6common25StripedToBlockedShuffleOpElEvPT2_S3_b
	.p2align	8
	.type	_Z20warp_exchange_kernelILj4ELj8EN6common25StripedToBlockedShuffleOpElEvPT2_S3_b,@function
_Z20warp_exchange_kernelILj4ELj8EN6common25StripedToBlockedShuffleOpElEvPT2_S3_b: ; @_Z20warp_exchange_kernelILj4ELj8EN6common25StripedToBlockedShuffleOpElEvPT2_S3_b
; %bb.0:
	s_load_b128 s[4:7], s[2:3], 0x0
	v_and_b32_e32 v9, 0x3ff, v0
	s_load_b64 s[0:1], s[0:1], 0x4
	s_load_b32 s2, s[2:3], 0x10
	v_bfe_u32 v10, v0, 10, 10
	v_mbcnt_lo_u32_b32 v12, -1, 0
	v_lshlrev_b32_e32 v1, 5, v9
	v_bfe_u32 v0, v0, 20, 10
	s_waitcnt lgkmcnt(0)
	s_clause 0x1
	global_load_b128 v[5:8], v1, s[4:5] offset:16
	global_load_b128 v[1:4], v1, s[4:5]
	v_lshlrev_b32_e32 v13, 2, v12
	s_lshr_b32 s0, s0, 16
	v_mul_u32_u24_e32 v10, s1, v10
	s_mul_i32 s0, s0, s1
	v_bfe_u32 v21, v12, 2, 1
	v_mul_lo_u32 v11, s0, v9
	v_xor_b32_e32 v18, 16, v13
	v_and_b32_e32 v17, 3, v12
	v_add_nc_u32_e32 v19, -1, v12
	v_xor_b32_e32 v23, 1, v21
	v_xor_b32_e32 v22, 3, v21
	s_and_b32 s0, s2, 1
	v_add3_u32 v10, v11, v10, v0
	v_lshlrev_b32_e32 v0, 2, v9
	s_cmp_eq_u32 s0, 0
	s_mov_b32 s0, -1
	s_delay_alu instid0(VALU_DEP_2)
	v_lshlrev_b32_e32 v20, 5, v10
	s_cbranch_scc0 .LBB16_2
; %bb.1:
	s_waitcnt vmcnt(1)
	ds_bpermute_b32 v9, v18, v5
	ds_bpermute_b32 v10, v18, v6
	;; [unrolled: 1-line block ×4, first 2 shown]
	v_lshl_or_b32 v13, v21, 3, v20
	v_lshl_or_b32 v14, v23, 3, v20
	;; [unrolled: 1-line block ×3, first 2 shown]
	v_xor_b32_e32 v24, 2, v17
	v_lshlrev_b32_e32 v27, 3, v17
	s_waitcnt vmcnt(0)
	ds_store_b128 v20, v[1:4]
	ds_store_b128 v20, v[5:8] offset:16
	ds_store_2addr_b64 v13, v[1:2], v[3:4] offset1:2
	s_waitcnt lgkmcnt(5)
	ds_store_b64 v14, v[9:10]
	s_waitcnt lgkmcnt(4)
	ds_store_b64 v15, v[11:12]
	ds_load_2addr_b64 v[9:12], v20 offset0:1 offset1:2
	ds_load_2addr_b64 v[13:16], v20 offset1:3
	s_waitcnt lgkmcnt(1)
	ds_bpermute_b32 v25, v18, v9
	ds_bpermute_b32 v26, v18, v10
	s_waitcnt lgkmcnt(2)
	ds_bpermute_b32 v15, v18, v15
	ds_bpermute_b32 v16, v18, v16
	v_add_nc_u32_e32 v9, -1, v24
	v_and_b32_e32 v10, 3, v19
	v_lshlrev_b32_e32 v24, 3, v24
	s_delay_alu instid0(VALU_DEP_3) | instskip(NEXT) | instid1(VALU_DEP_3)
	v_and_b32_e32 v9, 3, v9
	v_lshlrev_b32_e32 v28, 3, v10
	v_mov_b32_dpp v10, v12 quad_perm:[2,3,0,1] row_mask:0xf bank_mask:0xf
	s_delay_alu instid0(VALU_DEP_3)
	v_lshlrev_b32_e32 v29, 3, v9
	v_mov_b32_dpp v9, v11 quad_perm:[2,3,0,1] row_mask:0xf bank_mask:0xf
	s_waitcnt lgkmcnt(3)
	v_mov_b32_dpp v11, v25 quad_perm:[3,0,1,2] row_mask:0xf bank_mask:0xf
	s_waitcnt lgkmcnt(2)
	;; [unrolled: 2-line block ×4, first 2 shown]
	v_mov_b32_dpp v16, v16 quad_perm:[1,2,3,0] row_mask:0xf bank_mask:0xf
	s_clause 0x3
	scratch_store_b64 v27, v[13:14], off
	scratch_store_b64 v28, v[11:12], off
	;; [unrolled: 1-line block ×4, first 2 shown]
	s_clause 0x2
	scratch_load_b128 v[9:12], off, off offset:8
	scratch_load_b64 v[24:25], off, off offset:24
	scratch_load_b64 v[13:14], off, off
	s_waitcnt vmcnt(2)
	v_mov_b32_dpp v15, v9 quad_perm:[1,2,3,0] row_mask:0xf bank_mask:0xf
	v_mov_b32_dpp v16, v10 quad_perm:[1,2,3,0] row_mask:0xf bank_mask:0xf
	v_mov_b32_dpp v9, v11 quad_perm:[2,3,0,1] row_mask:0xf bank_mask:0xf
	v_mov_b32_dpp v10, v12 quad_perm:[2,3,0,1] row_mask:0xf bank_mask:0xf
	s_waitcnt vmcnt(1)
	v_mov_b32_dpp v11, v24 quad_perm:[3,0,1,2] row_mask:0xf bank_mask:0xf
	v_mov_b32_dpp v12, v25 quad_perm:[3,0,1,2] row_mask:0xf bank_mask:0xf
	s_cbranch_execz .LBB16_3
	s_branch .LBB16_4
.LBB16_2:
                                        ; implicit-def: $vgpr11_vgpr12
                                        ; implicit-def: $vgpr15_vgpr16
	s_and_not1_b32 vcc_lo, exec_lo, s0
	s_cbranch_vccnz .LBB16_4
.LBB16_3:
	s_waitcnt vmcnt(1)
	ds_bpermute_b32 v9, v18, v5
	ds_bpermute_b32 v10, v18, v6
	;; [unrolled: 1-line block ×4, first 2 shown]
	s_waitcnt vmcnt(0)
	v_add_nc_u32_e32 v13, 0x8000, v20
	v_add_nc_u32_e32 v14, 0x8008, v20
	ds_store_b128 v20, v[1:4] offset:32768
	ds_store_b128 v20, v[5:8] offset:32784
	v_add_nc_u32_e32 v5, 0x8000, v20
	v_lshl_or_b32 v15, v21, 3, v13
	v_lshl_or_b32 v16, v23, 3, v13
	;; [unrolled: 1-line block ×3, first 2 shown]
	ds_store_2addr_b64 v15, v[1:2], v[3:4] offset1:2
	s_waitcnt lgkmcnt(5)
	ds_store_b64 v16, v[9:10]
	s_waitcnt lgkmcnt(4)
	ds_store_b64 v13, v[11:12]
	ds_load_2addr_b64 v[1:4], v14 offset1:1
	ds_load_2addr_b64 v[5:8], v5 offset1:3
	v_xor_b32_e32 v9, 2, v17
	v_lshlrev_b32_e32 v12, 3, v17
	s_waitcnt lgkmcnt(1)
	ds_bpermute_b32 v10, v18, v1
	ds_bpermute_b32 v11, v18, v2
	s_waitcnt lgkmcnt(2)
	ds_bpermute_b32 v7, v18, v7
	ds_bpermute_b32 v8, v18, v8
	v_add_nc_u32_e32 v1, -1, v9
	v_and_b32_e32 v2, 3, v19
	v_lshlrev_b32_e32 v9, 3, v9
	s_delay_alu instid0(VALU_DEP_3) | instskip(NEXT) | instid1(VALU_DEP_3)
	v_and_b32_e32 v1, 3, v1
	v_lshlrev_b32_e32 v13, 3, v2
	v_mov_b32_dpp v2, v4 quad_perm:[2,3,0,1] row_mask:0xf bank_mask:0xf
	s_delay_alu instid0(VALU_DEP_3)
	v_lshlrev_b32_e32 v14, 3, v1
	v_mov_b32_dpp v1, v3 quad_perm:[2,3,0,1] row_mask:0xf bank_mask:0xf
	s_waitcnt lgkmcnt(3)
	v_mov_b32_dpp v3, v10 quad_perm:[3,0,1,2] row_mask:0xf bank_mask:0xf
	s_waitcnt lgkmcnt(2)
	;; [unrolled: 2-line block ×4, first 2 shown]
	v_mov_b32_dpp v8, v8 quad_perm:[1,2,3,0] row_mask:0xf bank_mask:0xf
	s_clause 0x3
	scratch_store_b64 v12, v[5:6], off
	scratch_store_b64 v13, v[3:4], off
	;; [unrolled: 1-line block ×4, first 2 shown]
	s_clause 0x2
	scratch_load_b128 v[1:4], off, off offset:8
	scratch_load_b64 v[5:6], off, off offset:24
	scratch_load_b64 v[13:14], off, off
	s_waitcnt vmcnt(2)
	v_mov_b32_dpp v15, v1 quad_perm:[1,2,3,0] row_mask:0xf bank_mask:0xf
	v_mov_b32_dpp v16, v2 quad_perm:[1,2,3,0] row_mask:0xf bank_mask:0xf
	;; [unrolled: 1-line block ×4, first 2 shown]
	s_waitcnt vmcnt(1)
	v_mov_b32_dpp v11, v5 quad_perm:[3,0,1,2] row_mask:0xf bank_mask:0xf
	v_mov_b32_dpp v12, v6 quad_perm:[3,0,1,2] row_mask:0xf bank_mask:0xf
.LBB16_4:
	v_lshlrev_b32_e32 v0, 3, v0
	s_waitcnt vmcnt(0)
	s_clause 0x1
	global_store_b128 v0, v[13:16], s[6:7]
	global_store_b128 v0, v[9:12], s[6:7] offset:16
	s_endpgm
	.section	.rodata,"a",@progbits
	.p2align	6, 0x0
	.amdhsa_kernel _Z20warp_exchange_kernelILj4ELj8EN6common25StripedToBlockedShuffleOpElEvPT2_S3_b
		.amdhsa_group_segment_fixed_size 65536
		.amdhsa_private_segment_fixed_size 48
		.amdhsa_kernarg_size 20
		.amdhsa_user_sgpr_count 15
		.amdhsa_user_sgpr_dispatch_ptr 1
		.amdhsa_user_sgpr_queue_ptr 0
		.amdhsa_user_sgpr_kernarg_segment_ptr 1
		.amdhsa_user_sgpr_dispatch_id 0
		.amdhsa_user_sgpr_private_segment_size 0
		.amdhsa_wavefront_size32 1
		.amdhsa_uses_dynamic_stack 0
		.amdhsa_enable_private_segment 1
		.amdhsa_system_sgpr_workgroup_id_x 1
		.amdhsa_system_sgpr_workgroup_id_y 0
		.amdhsa_system_sgpr_workgroup_id_z 0
		.amdhsa_system_sgpr_workgroup_info 0
		.amdhsa_system_vgpr_workitem_id 2
		.amdhsa_next_free_vgpr 30
		.amdhsa_next_free_sgpr 8
		.amdhsa_reserve_vcc 1
		.amdhsa_float_round_mode_32 0
		.amdhsa_float_round_mode_16_64 0
		.amdhsa_float_denorm_mode_32 3
		.amdhsa_float_denorm_mode_16_64 3
		.amdhsa_dx10_clamp 1
		.amdhsa_ieee_mode 1
		.amdhsa_fp16_overflow 0
		.amdhsa_workgroup_processor_mode 1
		.amdhsa_memory_ordered 1
		.amdhsa_forward_progress 0
		.amdhsa_shared_vgpr_count 0
		.amdhsa_exception_fp_ieee_invalid_op 0
		.amdhsa_exception_fp_denorm_src 0
		.amdhsa_exception_fp_ieee_div_zero 0
		.amdhsa_exception_fp_ieee_overflow 0
		.amdhsa_exception_fp_ieee_underflow 0
		.amdhsa_exception_fp_ieee_inexact 0
		.amdhsa_exception_int_div_zero 0
	.end_amdhsa_kernel
	.section	.text._Z20warp_exchange_kernelILj4ELj8EN6common25StripedToBlockedShuffleOpElEvPT2_S3_b,"axG",@progbits,_Z20warp_exchange_kernelILj4ELj8EN6common25StripedToBlockedShuffleOpElEvPT2_S3_b,comdat
.Lfunc_end16:
	.size	_Z20warp_exchange_kernelILj4ELj8EN6common25StripedToBlockedShuffleOpElEvPT2_S3_b, .Lfunc_end16-_Z20warp_exchange_kernelILj4ELj8EN6common25StripedToBlockedShuffleOpElEvPT2_S3_b
                                        ; -- End function
	.section	.AMDGPU.csdata,"",@progbits
; Kernel info:
; codeLenInByte = 1028
; NumSgprs: 10
; NumVgprs: 30
; ScratchSize: 48
; MemoryBound: 0
; FloatMode: 240
; IeeeMode: 1
; LDSByteSize: 65536 bytes/workgroup (compile time only)
; SGPRBlocks: 1
; VGPRBlocks: 3
; NumSGPRsForWavesPerEU: 10
; NumVGPRsForWavesPerEU: 30
; Occupancy: 16
; WaveLimiterHint : 0
; COMPUTE_PGM_RSRC2:SCRATCH_EN: 1
; COMPUTE_PGM_RSRC2:USER_SGPR: 15
; COMPUTE_PGM_RSRC2:TRAP_HANDLER: 0
; COMPUTE_PGM_RSRC2:TGID_X_EN: 1
; COMPUTE_PGM_RSRC2:TGID_Y_EN: 0
; COMPUTE_PGM_RSRC2:TGID_Z_EN: 0
; COMPUTE_PGM_RSRC2:TIDIG_COMP_CNT: 2
	.section	.text._Z20warp_exchange_kernelILj2ELj32EN6common25StripedToBlockedShuffleOpEsEvPT2_S3_b,"axG",@progbits,_Z20warp_exchange_kernelILj2ELj32EN6common25StripedToBlockedShuffleOpEsEvPT2_S3_b,comdat
	.protected	_Z20warp_exchange_kernelILj2ELj32EN6common25StripedToBlockedShuffleOpEsEvPT2_S3_b ; -- Begin function _Z20warp_exchange_kernelILj2ELj32EN6common25StripedToBlockedShuffleOpEsEvPT2_S3_b
	.globl	_Z20warp_exchange_kernelILj2ELj32EN6common25StripedToBlockedShuffleOpEsEvPT2_S3_b
	.p2align	8
	.type	_Z20warp_exchange_kernelILj2ELj32EN6common25StripedToBlockedShuffleOpEsEvPT2_S3_b,@function
_Z20warp_exchange_kernelILj2ELj32EN6common25StripedToBlockedShuffleOpEsEvPT2_S3_b: ; @_Z20warp_exchange_kernelILj2ELj32EN6common25StripedToBlockedShuffleOpEsEvPT2_S3_b
; %bb.0:
	s_clause 0x1
	s_load_b128 s[4:7], s[0:1], 0x0
	s_load_b32 s2, s[0:1], 0x10
	v_lshlrev_b32_e32 v1, 2, v0
	v_lshlrev_b32_e32 v0, 1, v0
	s_waitcnt lgkmcnt(0)
	global_load_b32 v2, v1, s[4:5]
	v_mbcnt_lo_u32_b32 v1, -1, 0
	s_bitcmp0_b32 s2, 0
	s_mov_b32 s2, -1
	s_delay_alu instid0(VALU_DEP_1) | instskip(SKIP_2) | instid1(VALU_DEP_3)
	v_lshlrev_b32_e32 v3, 3, v1
	v_and_b32_e32 v4, 16, v1
	v_cmp_gt_u32_e64 s1, 16, v1
	v_and_b32_e32 v3, 0x78, v3
	s_delay_alu instid0(VALU_DEP_3)
	v_cmp_ne_u32_e64 s0, 0, v4
	s_waitcnt vmcnt(0)
	v_lshrrev_b32_e32 v1, 16, v2
	v_and_b32_e32 v4, 0xffff, v2
	v_or_b32_e32 v2, 4, v3
	s_cbranch_scc0 .LBB17_2
; %bb.1:
	ds_bpermute_b32 v6, v3, v4
	ds_bpermute_b32 v5, v3, v1
	;; [unrolled: 1-line block ×3, first 2 shown]
	s_waitcnt lgkmcnt(1)
	v_bfi_b32 v8, 0xffff, v5, v6
	ds_bpermute_b32 v5, v2, v1
	v_cndmask_b32_e64 v6, v6, v8, s0
	s_waitcnt lgkmcnt(1)
	s_delay_alu instid0(VALU_DEP_1) | instskip(NEXT) | instid1(VALU_DEP_1)
	v_perm_b32 v7, v7, v6, 0x5040100
	v_cndmask_b32_e64 v6, v6, v7, s1
	s_cbranch_execz .LBB17_3
	s_branch .LBB17_4
.LBB17_2:
                                        ; implicit-def: $vgpr6
                                        ; implicit-def: $vgpr5
	s_and_not1_b32 vcc_lo, exec_lo, s2
	s_cbranch_vccnz .LBB17_4
.LBB17_3:
	ds_bpermute_b32 v6, v3, v4
	ds_bpermute_b32 v3, v3, v1
	;; [unrolled: 1-line block ×3, first 2 shown]
	s_waitcnt lgkmcnt(3)
	ds_bpermute_b32 v5, v2, v1
	s_waitcnt lgkmcnt(2)
	v_bfi_b32 v3, 0xffff, v3, v6
	s_delay_alu instid0(VALU_DEP_1) | instskip(SKIP_1) | instid1(VALU_DEP_1)
	v_cndmask_b32_e64 v1, v6, v3, s0
	s_waitcnt lgkmcnt(1)
	v_perm_b32 v2, v4, v1, 0x5040100
	s_delay_alu instid0(VALU_DEP_1)
	v_cndmask_b32_e64 v6, v1, v2, s1
.LBB17_4:
	s_waitcnt lgkmcnt(0)
	s_delay_alu instid0(VALU_DEP_1) | instskip(SKIP_1) | instid1(VALU_DEP_2)
	v_perm_b32 v1, v5, v6, 0x5040100
	v_lshlrev_b32_e32 v0, 1, v0
	v_cndmask_b32_e64 v1, v6, v1, s0
	global_store_b32 v0, v1, s[6:7]
	s_nop 0
	s_sendmsg sendmsg(MSG_DEALLOC_VGPRS)
	s_endpgm
	.section	.rodata,"a",@progbits
	.p2align	6, 0x0
	.amdhsa_kernel _Z20warp_exchange_kernelILj2ELj32EN6common25StripedToBlockedShuffleOpEsEvPT2_S3_b
		.amdhsa_group_segment_fixed_size 0
		.amdhsa_private_segment_fixed_size 0
		.amdhsa_kernarg_size 20
		.amdhsa_user_sgpr_count 15
		.amdhsa_user_sgpr_dispatch_ptr 0
		.amdhsa_user_sgpr_queue_ptr 0
		.amdhsa_user_sgpr_kernarg_segment_ptr 1
		.amdhsa_user_sgpr_dispatch_id 0
		.amdhsa_user_sgpr_private_segment_size 0
		.amdhsa_wavefront_size32 1
		.amdhsa_uses_dynamic_stack 0
		.amdhsa_enable_private_segment 0
		.amdhsa_system_sgpr_workgroup_id_x 1
		.amdhsa_system_sgpr_workgroup_id_y 0
		.amdhsa_system_sgpr_workgroup_id_z 0
		.amdhsa_system_sgpr_workgroup_info 0
		.amdhsa_system_vgpr_workitem_id 0
		.amdhsa_next_free_vgpr 9
		.amdhsa_next_free_sgpr 8
		.amdhsa_reserve_vcc 1
		.amdhsa_float_round_mode_32 0
		.amdhsa_float_round_mode_16_64 0
		.amdhsa_float_denorm_mode_32 3
		.amdhsa_float_denorm_mode_16_64 3
		.amdhsa_dx10_clamp 1
		.amdhsa_ieee_mode 1
		.amdhsa_fp16_overflow 0
		.amdhsa_workgroup_processor_mode 1
		.amdhsa_memory_ordered 1
		.amdhsa_forward_progress 0
		.amdhsa_shared_vgpr_count 0
		.amdhsa_exception_fp_ieee_invalid_op 0
		.amdhsa_exception_fp_denorm_src 0
		.amdhsa_exception_fp_ieee_div_zero 0
		.amdhsa_exception_fp_ieee_overflow 0
		.amdhsa_exception_fp_ieee_underflow 0
		.amdhsa_exception_fp_ieee_inexact 0
		.amdhsa_exception_int_div_zero 0
	.end_amdhsa_kernel
	.section	.text._Z20warp_exchange_kernelILj2ELj32EN6common25StripedToBlockedShuffleOpEsEvPT2_S3_b,"axG",@progbits,_Z20warp_exchange_kernelILj2ELj32EN6common25StripedToBlockedShuffleOpEsEvPT2_S3_b,comdat
.Lfunc_end17:
	.size	_Z20warp_exchange_kernelILj2ELj32EN6common25StripedToBlockedShuffleOpEsEvPT2_S3_b, .Lfunc_end17-_Z20warp_exchange_kernelILj2ELj32EN6common25StripedToBlockedShuffleOpEsEvPT2_S3_b
                                        ; -- End function
	.section	.AMDGPU.csdata,"",@progbits
; Kernel info:
; codeLenInByte = 364
; NumSgprs: 10
; NumVgprs: 9
; ScratchSize: 0
; MemoryBound: 0
; FloatMode: 240
; IeeeMode: 1
; LDSByteSize: 0 bytes/workgroup (compile time only)
; SGPRBlocks: 1
; VGPRBlocks: 1
; NumSGPRsForWavesPerEU: 10
; NumVGPRsForWavesPerEU: 9
; Occupancy: 16
; WaveLimiterHint : 0
; COMPUTE_PGM_RSRC2:SCRATCH_EN: 0
; COMPUTE_PGM_RSRC2:USER_SGPR: 15
; COMPUTE_PGM_RSRC2:TRAP_HANDLER: 0
; COMPUTE_PGM_RSRC2:TGID_X_EN: 1
; COMPUTE_PGM_RSRC2:TGID_Y_EN: 0
; COMPUTE_PGM_RSRC2:TGID_Z_EN: 0
; COMPUTE_PGM_RSRC2:TIDIG_COMP_CNT: 0
	.section	.text._Z20warp_exchange_kernelILj4ELj16EN6common25StripedToBlockedShuffleOpEaEvPT2_S3_b,"axG",@progbits,_Z20warp_exchange_kernelILj4ELj16EN6common25StripedToBlockedShuffleOpEaEvPT2_S3_b,comdat
	.protected	_Z20warp_exchange_kernelILj4ELj16EN6common25StripedToBlockedShuffleOpEaEvPT2_S3_b ; -- Begin function _Z20warp_exchange_kernelILj4ELj16EN6common25StripedToBlockedShuffleOpEaEvPT2_S3_b
	.globl	_Z20warp_exchange_kernelILj4ELj16EN6common25StripedToBlockedShuffleOpEaEvPT2_S3_b
	.p2align	8
	.type	_Z20warp_exchange_kernelILj4ELj16EN6common25StripedToBlockedShuffleOpEaEvPT2_S3_b,@function
_Z20warp_exchange_kernelILj4ELj16EN6common25StripedToBlockedShuffleOpEaEvPT2_S3_b: ; @_Z20warp_exchange_kernelILj4ELj16EN6common25StripedToBlockedShuffleOpEaEvPT2_S3_b
; %bb.0:
	s_load_b128 s[4:7], s[0:1], 0x0
	v_lshlrev_b32_e32 v0, 2, v0
	v_mbcnt_lo_u32_b32 v13, -1, 0
	s_load_b32 s0, s[0:1], 0x10
	s_delay_alu instid0(VALU_DEP_1)
	v_bfe_u32 v5, v13, 2, 2
	v_and_b32_e32 v4, 16, v13
	v_add_nc_u32_e32 v2, 12, v13
	v_lshlrev_b32_e32 v6, 2, v13
	v_lshrrev_b32_e32 v8, 2, v13
	v_xor_b32_e32 v9, 2, v5
	v_add_nc_u32_e32 v7, 4, v13
	v_and_or_b32 v10, v2, 15, v4
	v_xor_b32_e32 v2, 32, v6
	v_add_nc_u32_e32 v6, -1, v8
	v_add_nc_u32_e32 v8, -1, v9
	v_lshlrev_b32_e32 v11, 3, v5
	v_and_or_b32 v7, v7, 15, v4
	s_waitcnt lgkmcnt(0)
	global_load_b32 v3, v0, s[4:5]
	v_and_b32_e32 v6, 3, v6
	v_and_b32_e32 v8, 3, v8
	v_lshlrev_b32_e64 v14, v11, 0xff
	v_and_b32_e32 v1, 3, v13
	v_lshlrev_b32_e32 v4, 2, v10
	v_lshlrev_b32_e32 v5, 2, v7
	;; [unrolled: 1-line block ×5, first 2 shown]
	s_bitcmp0_b32 s0, 0
	s_mov_b32 s0, -1
	s_waitcnt vmcnt(0)
	v_perm_b32 v15, v3, v3, 0x4040404
	v_lshrrev_b32_e32 v10, 24, v3
	v_bfe_u32 v11, v3, 8, 8
	v_bfe_u32 v12, v3, 16, 8
	s_delay_alu instid0(VALU_DEP_4)
	v_bfi_b32 v8, v14, v15, v3
	v_add_nc_u32_e32 v3, -1, v13
	s_cbranch_scc0 .LBB18_2
; %bb.1:
	ds_bpermute_b32 v13, v4, v11
	ds_bpermute_b32 v14, v2, v12
	;; [unrolled: 1-line block ×3, first 2 shown]
	v_lshlrev_b32_e64 v18, v9, 0xff
	s_waitcnt lgkmcnt(2)
	v_lshlrev_b16 v16, 8, v13
	v_and_b32_e32 v13, 0xff, v13
	s_waitcnt lgkmcnt(1)
	v_lshlrev_b16 v17, 8, v14
	v_and_b32_e32 v14, 0xff, v14
	s_delay_alu instid0(VALU_DEP_3)
	v_or_b32_e32 v13, v13, v16
	s_waitcnt lgkmcnt(0)
	v_lshlrev_b16 v16, 8, v15
	v_and_b32_e32 v15, 0xff, v15
	v_or_b32_e32 v14, v14, v17
	v_and_b32_e32 v17, 0xffff, v13
	v_lshlrev_b32_e32 v13, 16, v13
	s_delay_alu instid0(VALU_DEP_4) | instskip(NEXT) | instid1(VALU_DEP_4)
	v_or_b32_e32 v15, v15, v16
	v_and_b32_e32 v16, 0xffff, v14
	v_lshlrev_b32_e32 v14, 16, v14
	s_delay_alu instid0(VALU_DEP_4)
	v_or_b32_e32 v13, v17, v13
	v_lshlrev_b32_e64 v17, v7, 0xff
	v_and_b32_e32 v19, 0xffff, v15
	v_lshlrev_b32_e32 v15, 16, v15
	v_or_b32_e32 v14, v16, v14
	v_bfi_b32 v13, v18, v13, v8
	v_lshlrev_b32_e64 v16, v6, 0xff
	v_and_b32_e32 v18, 3, v3
	v_or_b32_e32 v15, v19, v15
	v_xor_b32_e32 v19, 2, v1
	v_bfi_b32 v13, v17, v14, v13
	v_lshlrev_b32_e32 v17, 3, v1
	v_lshlrev_b32_e32 v18, 3, v18
	s_delay_alu instid0(VALU_DEP_4) | instskip(NEXT) | instid1(VALU_DEP_4)
	v_lshlrev_b32_e32 v21, 3, v19
	v_bfi_b32 v13, v16, v15, v13
	s_delay_alu instid0(VALU_DEP_4) | instskip(SKIP_2) | instid1(VALU_DEP_4)
	v_lshlrev_b32_e64 v17, v17, 0xff
	v_add_nc_u32_e32 v19, -1, v19
	v_lshlrev_b32_e64 v18, v18, 0xff
	v_bfe_u32 v14, v13, 8, 8
	v_bfe_u32 v15, v13, 16, 8
	v_lshrrev_b32_e32 v16, 24, v13
	v_lshlrev_b16 v20, 8, v13
	v_and_b32_e32 v13, 0xff, v13
	ds_bpermute_b32 v14, v5, v14
	ds_bpermute_b32 v15, v2, v15
	;; [unrolled: 1-line block ×3, first 2 shown]
	v_and_b32_e32 v19, 3, v19
	v_or_b32_e32 v13, v13, v20
	v_lshlrev_b32_e64 v20, v21, 0xff
	s_delay_alu instid0(VALU_DEP_3) | instskip(NEXT) | instid1(VALU_DEP_3)
	v_lshlrev_b32_e32 v19, 3, v19
	v_and_b32_e32 v21, 0xffff, v13
	v_lshlrev_b32_e32 v13, 16, v13
	s_delay_alu instid0(VALU_DEP_1) | instskip(NEXT) | instid1(VALU_DEP_1)
	v_or_b32_e32 v13, v21, v13
	v_and_b32_e32 v13, v17, v13
	s_waitcnt lgkmcnt(2)
	v_and_b32_e32 v14, 0xff, v14
	s_waitcnt lgkmcnt(1)
	;; [unrolled: 2-line block ×3, first 2 shown]
	v_and_b32_e32 v16, 0xff, v16
	v_mov_b32_dpp v14, v14 quad_perm:[3,0,1,2] row_mask:0xf bank_mask:0xf
	s_delay_alu instid0(VALU_DEP_3) | instskip(NEXT) | instid1(VALU_DEP_3)
	v_mov_b32_dpp v15, v15 quad_perm:[2,3,0,1] row_mask:0xf bank_mask:0xf
	v_mov_b32_dpp v16, v16 quad_perm:[1,2,3,0] row_mask:0xf bank_mask:0xf
	s_delay_alu instid0(VALU_DEP_3) | instskip(SKIP_1) | instid1(VALU_DEP_4)
	v_lshlrev_b16 v22, 8, v14
	v_and_b32_e32 v14, 0xff, v14
	v_lshlrev_b16 v23, 8, v15
	v_and_b32_e32 v15, 0xff, v15
	;; [unrolled: 2-line block ×3, first 2 shown]
	v_or_b32_e32 v14, v14, v22
	s_delay_alu instid0(VALU_DEP_4) | instskip(NEXT) | instid1(VALU_DEP_3)
	v_or_b32_e32 v15, v15, v23
	v_or_b32_e32 v16, v16, v21
	s_delay_alu instid0(VALU_DEP_3) | instskip(SKIP_1) | instid1(VALU_DEP_4)
	v_and_b32_e32 v22, 0xffff, v14
	v_lshlrev_b32_e32 v14, 16, v14
	v_and_b32_e32 v17, 0xffff, v15
	v_lshlrev_b32_e32 v15, 16, v15
	;; [unrolled: 2-line block ×3, first 2 shown]
	v_or_b32_e32 v14, v22, v14
	s_delay_alu instid0(VALU_DEP_4) | instskip(NEXT) | instid1(VALU_DEP_3)
	v_or_b32_e32 v15, v17, v15
	v_or_b32_e32 v16, v21, v16
	s_delay_alu instid0(VALU_DEP_3) | instskip(SKIP_1) | instid1(VALU_DEP_2)
	v_bfi_b32 v13, v18, v14, v13
	v_lshlrev_b32_e64 v14, v19, 0xff
	v_bfi_b32 v13, v20, v15, v13
	s_delay_alu instid0(VALU_DEP_1) | instskip(NEXT) | instid1(VALU_DEP_1)
	v_bfi_b32 v13, v14, v16, v13
	v_bfe_u32 v14, v13, 8, 8
	v_bfe_u32 v15, v13, 16, 8
	v_lshrrev_b32_e32 v17, 24, v13
	s_delay_alu instid0(VALU_DEP_3) | instskip(NEXT) | instid1(VALU_DEP_3)
	v_mov_b32_dpp v16, v14 quad_perm:[1,2,3,0] row_mask:0xf bank_mask:0xf
	v_mov_b32_dpp v14, v15 quad_perm:[2,3,0,1] row_mask:0xf bank_mask:0xf
	s_delay_alu instid0(VALU_DEP_3)
	v_mov_b32_dpp v15, v17 quad_perm:[3,0,1,2] row_mask:0xf bank_mask:0xf
	s_cbranch_execz .LBB18_3
	s_branch .LBB18_4
.LBB18_2:
                                        ; implicit-def: $vgpr13
                                        ; implicit-def: $vgpr15
                                        ; implicit-def: $vgpr14
                                        ; implicit-def: $vgpr16
	s_and_not1_b32 vcc_lo, exec_lo, s0
	s_cbranch_vccnz .LBB18_4
.LBB18_3:
	ds_bpermute_b32 v11, v4, v11
	ds_bpermute_b32 v12, v2, v12
	;; [unrolled: 1-line block ×3, first 2 shown]
	v_lshlrev_b32_e64 v9, v9, 0xff
	v_lshlrev_b32_e64 v7, v7, 0xff
	;; [unrolled: 1-line block ×3, first 2 shown]
	v_and_b32_e32 v3, 3, v3
	s_delay_alu instid0(VALU_DEP_1) | instskip(NEXT) | instid1(VALU_DEP_1)
	v_lshlrev_b32_e32 v3, 3, v3
	v_lshlrev_b32_e64 v3, v3, 0xff
	s_waitcnt lgkmcnt(2)
	v_lshlrev_b16 v13, 8, v11
	v_and_b32_e32 v11, 0xff, v11
	s_waitcnt lgkmcnt(1)
	v_lshlrev_b16 v14, 8, v12
	v_and_b32_e32 v12, 0xff, v12
	s_delay_alu instid0(VALU_DEP_3)
	v_or_b32_e32 v11, v11, v13
	s_waitcnt lgkmcnt(0)
	v_lshlrev_b16 v13, 8, v10
	v_and_b32_e32 v10, 0xff, v10
	v_or_b32_e32 v12, v12, v14
	v_and_b32_e32 v14, 0xffff, v11
	v_lshlrev_b32_e32 v11, 16, v11
	s_delay_alu instid0(VALU_DEP_4) | instskip(NEXT) | instid1(VALU_DEP_4)
	v_or_b32_e32 v10, v10, v13
	v_and_b32_e32 v13, 0xffff, v12
	v_lshlrev_b32_e32 v12, 16, v12
	s_delay_alu instid0(VALU_DEP_4) | instskip(NEXT) | instid1(VALU_DEP_4)
	;; [unrolled: 4-line block ×3, first 2 shown]
	v_or_b32_e32 v12, v13, v12
	v_bfi_b32 v8, v9, v11, v8
	s_delay_alu instid0(VALU_DEP_3) | instskip(NEXT) | instid1(VALU_DEP_2)
	v_or_b32_e32 v9, v14, v10
	v_bfi_b32 v7, v7, v12, v8
	s_delay_alu instid0(VALU_DEP_1) | instskip(NEXT) | instid1(VALU_DEP_1)
	v_bfi_b32 v6, v6, v9, v7
	v_bfe_u32 v7, v6, 8, 8
	v_bfe_u32 v8, v6, 16, 8
	ds_bpermute_b32 v5, v5, v7
	v_lshrrev_b32_e32 v7, 24, v6
	ds_bpermute_b32 v2, v2, v8
	v_lshlrev_b16 v8, 8, v6
	v_and_b32_e32 v6, 0xff, v6
	ds_bpermute_b32 v4, v4, v7
	v_lshlrev_b32_e32 v7, 3, v1
	v_xor_b32_e32 v1, 2, v1
	v_or_b32_e32 v6, v6, v8
	s_delay_alu instid0(VALU_DEP_3) | instskip(NEXT) | instid1(VALU_DEP_3)
	v_lshlrev_b32_e64 v7, v7, 0xff
	v_lshlrev_b32_e32 v9, 3, v1
	v_add_nc_u32_e32 v1, -1, v1
	s_delay_alu instid0(VALU_DEP_2)
	v_lshlrev_b32_e64 v8, v9, 0xff
	v_and_b32_e32 v9, 0xffff, v6
	s_waitcnt lgkmcnt(2)
	v_and_b32_e32 v5, 0xff, v5
	v_lshlrev_b32_e32 v6, 16, v6
	s_waitcnt lgkmcnt(1)
	v_and_b32_e32 v2, 0xff, v2
	v_and_b32_e32 v1, 3, v1
	v_mov_b32_dpp v5, v5 quad_perm:[3,0,1,2] row_mask:0xf bank_mask:0xf
	s_waitcnt lgkmcnt(0)
	v_and_b32_e32 v4, 0xff, v4
	v_mov_b32_dpp v2, v2 quad_perm:[2,3,0,1] row_mask:0xf bank_mask:0xf
	v_or_b32_e32 v6, v9, v6
	v_lshlrev_b32_e32 v1, 3, v1
	v_lshlrev_b16 v10, 8, v5
	v_and_b32_e32 v5, 0xff, v5
	v_mov_b32_dpp v4, v4 quad_perm:[1,2,3,0] row_mask:0xf bank_mask:0xf
	v_lshlrev_b16 v11, 8, v2
	v_and_b32_e32 v2, 0xff, v2
	v_and_b32_e32 v6, v7, v6
	v_or_b32_e32 v5, v5, v10
	v_lshlrev_b16 v9, 8, v4
	v_and_b32_e32 v4, 0xff, v4
	v_or_b32_e32 v2, v2, v11
	v_lshlrev_b32_e64 v1, v1, 0xff
	v_and_b32_e32 v10, 0xffff, v5
	v_lshlrev_b32_e32 v5, 16, v5
	v_or_b32_e32 v4, v4, v9
	v_and_b32_e32 v7, 0xffff, v2
	v_lshlrev_b32_e32 v2, 16, v2
	s_delay_alu instid0(VALU_DEP_4) | instskip(NEXT) | instid1(VALU_DEP_4)
	v_or_b32_e32 v5, v10, v5
	v_and_b32_e32 v9, 0xffff, v4
	v_lshlrev_b32_e32 v4, 16, v4
	s_delay_alu instid0(VALU_DEP_4) | instskip(NEXT) | instid1(VALU_DEP_4)
	v_or_b32_e32 v2, v7, v2
	v_bfi_b32 v3, v3, v5, v6
	s_delay_alu instid0(VALU_DEP_3) | instskip(NEXT) | instid1(VALU_DEP_2)
	v_or_b32_e32 v4, v9, v4
	v_bfi_b32 v2, v8, v2, v3
	s_delay_alu instid0(VALU_DEP_1) | instskip(NEXT) | instid1(VALU_DEP_1)
	v_bfi_b32 v13, v1, v4, v2
	v_bfe_u32 v1, v13, 8, 8
	v_bfe_u32 v2, v13, 16, 8
	v_lshrrev_b32_e32 v3, 24, v13
	s_delay_alu instid0(VALU_DEP_3) | instskip(NEXT) | instid1(VALU_DEP_3)
	v_mov_b32_dpp v16, v1 quad_perm:[1,2,3,0] row_mask:0xf bank_mask:0xf
	v_mov_b32_dpp v14, v2 quad_perm:[2,3,0,1] row_mask:0xf bank_mask:0xf
	s_delay_alu instid0(VALU_DEP_3)
	v_mov_b32_dpp v15, v3 quad_perm:[3,0,1,2] row_mask:0xf bank_mask:0xf
.LBB18_4:
	s_delay_alu instid0(VALU_DEP_3) | instskip(SKIP_1) | instid1(VALU_DEP_3)
	v_lshlrev_b16 v1, 8, v16
	v_and_b32_e32 v2, 0xff, v13
	v_lshlrev_b16 v3, 8, v15
	v_and_b32_e32 v4, 0xff, v14
	v_add_co_u32 v0, s0, s6, v0
	s_delay_alu instid0(VALU_DEP_4) | instskip(NEXT) | instid1(VALU_DEP_3)
	v_or_b32_e32 v1, v2, v1
	v_or_b32_e32 v2, v4, v3
	s_delay_alu instid0(VALU_DEP_2) | instskip(SKIP_1) | instid1(VALU_DEP_3)
	v_and_b32_e32 v3, 0xffff, v1
	v_add_co_ci_u32_e64 v1, null, s7, 0, s0
	v_lshlrev_b32_e32 v2, 16, v2
	s_delay_alu instid0(VALU_DEP_1)
	v_or_b32_e32 v2, v3, v2
	global_store_b32 v[0:1], v2, off
	s_nop 0
	s_sendmsg sendmsg(MSG_DEALLOC_VGPRS)
	s_endpgm
	.section	.rodata,"a",@progbits
	.p2align	6, 0x0
	.amdhsa_kernel _Z20warp_exchange_kernelILj4ELj16EN6common25StripedToBlockedShuffleOpEaEvPT2_S3_b
		.amdhsa_group_segment_fixed_size 0
		.amdhsa_private_segment_fixed_size 0
		.amdhsa_kernarg_size 20
		.amdhsa_user_sgpr_count 15
		.amdhsa_user_sgpr_dispatch_ptr 0
		.amdhsa_user_sgpr_queue_ptr 0
		.amdhsa_user_sgpr_kernarg_segment_ptr 1
		.amdhsa_user_sgpr_dispatch_id 0
		.amdhsa_user_sgpr_private_segment_size 0
		.amdhsa_wavefront_size32 1
		.amdhsa_uses_dynamic_stack 0
		.amdhsa_enable_private_segment 0
		.amdhsa_system_sgpr_workgroup_id_x 1
		.amdhsa_system_sgpr_workgroup_id_y 0
		.amdhsa_system_sgpr_workgroup_id_z 0
		.amdhsa_system_sgpr_workgroup_info 0
		.amdhsa_system_vgpr_workitem_id 0
		.amdhsa_next_free_vgpr 24
		.amdhsa_next_free_sgpr 8
		.amdhsa_reserve_vcc 1
		.amdhsa_float_round_mode_32 0
		.amdhsa_float_round_mode_16_64 0
		.amdhsa_float_denorm_mode_32 3
		.amdhsa_float_denorm_mode_16_64 3
		.amdhsa_dx10_clamp 1
		.amdhsa_ieee_mode 1
		.amdhsa_fp16_overflow 0
		.amdhsa_workgroup_processor_mode 1
		.amdhsa_memory_ordered 1
		.amdhsa_forward_progress 0
		.amdhsa_shared_vgpr_count 0
		.amdhsa_exception_fp_ieee_invalid_op 0
		.amdhsa_exception_fp_denorm_src 0
		.amdhsa_exception_fp_ieee_div_zero 0
		.amdhsa_exception_fp_ieee_overflow 0
		.amdhsa_exception_fp_ieee_underflow 0
		.amdhsa_exception_fp_ieee_inexact 0
		.amdhsa_exception_int_div_zero 0
	.end_amdhsa_kernel
	.section	.text._Z20warp_exchange_kernelILj4ELj16EN6common25StripedToBlockedShuffleOpEaEvPT2_S3_b,"axG",@progbits,_Z20warp_exchange_kernelILj4ELj16EN6common25StripedToBlockedShuffleOpEaEvPT2_S3_b,comdat
.Lfunc_end18:
	.size	_Z20warp_exchange_kernelILj4ELj16EN6common25StripedToBlockedShuffleOpEaEvPT2_S3_b, .Lfunc_end18-_Z20warp_exchange_kernelILj4ELj16EN6common25StripedToBlockedShuffleOpEaEvPT2_S3_b
                                        ; -- End function
	.section	.AMDGPU.csdata,"",@progbits
; Kernel info:
; codeLenInByte = 1672
; NumSgprs: 10
; NumVgprs: 24
; ScratchSize: 0
; MemoryBound: 0
; FloatMode: 240
; IeeeMode: 1
; LDSByteSize: 0 bytes/workgroup (compile time only)
; SGPRBlocks: 1
; VGPRBlocks: 2
; NumSGPRsForWavesPerEU: 10
; NumVGPRsForWavesPerEU: 24
; Occupancy: 16
; WaveLimiterHint : 0
; COMPUTE_PGM_RSRC2:SCRATCH_EN: 0
; COMPUTE_PGM_RSRC2:USER_SGPR: 15
; COMPUTE_PGM_RSRC2:TRAP_HANDLER: 0
; COMPUTE_PGM_RSRC2:TGID_X_EN: 1
; COMPUTE_PGM_RSRC2:TGID_Y_EN: 0
; COMPUTE_PGM_RSRC2:TGID_Z_EN: 0
; COMPUTE_PGM_RSRC2:TIDIG_COMP_CNT: 0
	.section	.text._Z20warp_exchange_kernelILj4ELj8EN6common25StripedToBlockedShuffleOpEiEvPT2_S3_b,"axG",@progbits,_Z20warp_exchange_kernelILj4ELj8EN6common25StripedToBlockedShuffleOpEiEvPT2_S3_b,comdat
	.protected	_Z20warp_exchange_kernelILj4ELj8EN6common25StripedToBlockedShuffleOpEiEvPT2_S3_b ; -- Begin function _Z20warp_exchange_kernelILj4ELj8EN6common25StripedToBlockedShuffleOpEiEvPT2_S3_b
	.globl	_Z20warp_exchange_kernelILj4ELj8EN6common25StripedToBlockedShuffleOpEiEvPT2_S3_b
	.p2align	8
	.type	_Z20warp_exchange_kernelILj4ELj8EN6common25StripedToBlockedShuffleOpEiEvPT2_S3_b,@function
_Z20warp_exchange_kernelILj4ELj8EN6common25StripedToBlockedShuffleOpEiEvPT2_S3_b: ; @_Z20warp_exchange_kernelILj4ELj8EN6common25StripedToBlockedShuffleOpEiEvPT2_S3_b
; %bb.0:
	s_clause 0x1
	s_load_b128 s[20:23], s[0:1], 0x0
	s_load_b32 s24, s[0:1], 0x10
	v_dual_mov_b32 v6, 0 :: v_dual_lshlrev_b32 v1, 4, v0
	v_mbcnt_lo_u32_b32 v5, -1, 0
	s_delay_alu instid0(VALU_DEP_1) | instskip(NEXT) | instid1(VALU_DEP_1)
	v_bfe_u32 v10, v5, 2, 1
	v_xor_b32_e32 v13, 3, v10
	s_delay_alu instid0(VALU_DEP_1)
	v_cmp_eq_u32_e64 s12, 0, v13
	s_waitcnt lgkmcnt(0)
	global_load_b128 v[1:4], v1, s[20:21]
	v_lshlrev_b32_e32 v7, 2, v5
	v_and_b32_e32 v8, 3, v5
	v_and_b32_e32 v11, 4, v5
	v_add_nc_u32_e32 v12, -1, v5
	v_xor_b32_e32 v5, 1, v10
	v_xor_b32_e32 v9, 16, v7
	;; [unrolled: 1-line block ×3, first 2 shown]
	v_cmp_ne_u32_e32 vcc_lo, 0, v11
	v_or_b32_e32 v8, 2, v10
	v_cmp_ne_u64_e64 s18, 0, v[5:6]
	v_cmp_eq_u32_e64 s15, 3, v5
	v_add_nc_u32_e32 v14, -1, v7
	v_cmp_eq_u32_e64 s10, 2, v5
	v_cmp_eq_u32_e64 s14, 0, v5
	;; [unrolled: 1-line block ×4, first 2 shown]
	v_and_b32_e32 v5, 3, v14
	v_cmp_eq_u32_e64 s8, 2, v7
	v_cmp_eq_u32_e64 s9, 3, v7
	;; [unrolled: 1-line block ×5, first 2 shown]
	s_bitcmp0_b32 s24, 0
	s_mov_b32 s20, -1
	s_waitcnt vmcnt(0)
	v_cndmask_b32_e32 v6, v2, v1, vcc_lo
	v_cmp_eq_u32_e32 vcc_lo, 3, v10
	v_lshlrev_b32_e32 v0, 2, v0
	v_cmp_eq_u32_e64 s0, 3, v5
	v_cmp_eq_u32_e64 s2, 2, v5
	;; [unrolled: 1-line block ×3, first 2 shown]
	v_cndmask_b32_e32 v7, v4, v1, vcc_lo
	v_cmp_eq_u32_e32 vcc_lo, 2, v10
	v_cmp_eq_u32_e64 s17, 0, v5
	v_cndmask_b32_e32 v10, v3, v1, vcc_lo
	v_cmp_eq_u32_e32 vcc_lo, 0, v8
	v_cndmask_b32_e32 v1, v1, v2, vcc_lo
	v_cmp_eq_u32_e32 vcc_lo, 3, v8
	;; [unrolled: 2-line block ×3, first 2 shown]
	v_and_b32_e32 v12, 3, v12
	v_cndmask_b32_e32 v10, v10, v2, vcc_lo
	v_cmp_eq_u32_e32 vcc_lo, 1, v8
	s_delay_alu instid0(VALU_DEP_3)
	v_cmp_eq_u32_e64 s3, 3, v12
	v_cmp_eq_u32_e64 s6, 2, v12
	;; [unrolled: 1-line block ×4, first 2 shown]
	v_cndmask_b32_e32 v2, v6, v2, vcc_lo
	s_cbranch_scc0 .LBB19_2
; %bb.1:
	ds_bpermute_b32 v5, v9, v3
	ds_bpermute_b32 v6, v9, v4
	s_waitcnt lgkmcnt(1)
	v_cndmask_b32_e64 v7, v2, v5, s18
	v_cndmask_b32_e64 v8, v11, v5, s15
	v_cndmask_b32_e64 v12, v1, v5, s14
	v_cndmask_b32_e64 v5, v10, v5, s10
	s_waitcnt lgkmcnt(0)
	v_cndmask_b32_e64 v7, v7, v6, s19
	v_cndmask_b32_e64 v8, v8, v6, s16
	;; [unrolled: 1-line block ×4, first 2 shown]
	ds_bpermute_b32 v7, v9, v7
	ds_bpermute_b32 v8, v9, v8
	v_mov_b32_dpp v5, v5 quad_perm:[2,3,0,1] row_mask:0xf bank_mask:0xf
	s_waitcnt lgkmcnt(1)
	v_mov_b32_dpp v6, v7 quad_perm:[3,0,1,2] row_mask:0xf bank_mask:0xf
	s_waitcnt lgkmcnt(0)
	v_mov_b32_dpp v8, v8 quad_perm:[1,2,3,0] row_mask:0xf bank_mask:0xf
	s_delay_alu instid0(VALU_DEP_2) | instskip(SKIP_3) | instid1(VALU_DEP_4)
	v_cndmask_b32_e64 v7, v12, v6, s11
	v_cndmask_b32_e64 v13, v12, v6, s6
	;; [unrolled: 1-line block ×5, first 2 shown]
	s_delay_alu instid0(VALU_DEP_4) | instskip(NEXT) | instid1(VALU_DEP_4)
	v_cndmask_b32_e64 v12, v13, v5, s8
	v_cndmask_b32_e64 v13, v14, v5, s9
	s_delay_alu instid0(VALU_DEP_4) | instskip(NEXT) | instid1(VALU_DEP_4)
	v_cndmask_b32_e64 v5, v6, v5, s1
	v_cndmask_b32_e64 v6, v7, v8, s5
	;; [unrolled: 3-line block ×3, first 2 shown]
	s_delay_alu instid0(VALU_DEP_4) | instskip(NEXT) | instid1(VALU_DEP_4)
	v_cndmask_b32_e64 v5, v5, v8, s17
	v_mov_b32_dpp v6, v6 quad_perm:[1,2,3,0] row_mask:0xf bank_mask:0xf
	s_delay_alu instid0(VALU_DEP_4) | instskip(NEXT) | instid1(VALU_DEP_4)
	v_mov_b32_dpp v7, v7 quad_perm:[2,3,0,1] row_mask:0xf bank_mask:0xf
	v_mov_b32_dpp v8, v12 quad_perm:[3,0,1,2] row_mask:0xf bank_mask:0xf
	s_cbranch_execz .LBB19_3
	s_branch .LBB19_4
.LBB19_2:
                                        ; implicit-def: $vgpr8
	s_and_not1_b32 vcc_lo, exec_lo, s20
	s_cbranch_vccnz .LBB19_4
.LBB19_3:
	ds_bpermute_b32 v3, v9, v3
	ds_bpermute_b32 v4, v9, v4
	s_waitcnt lgkmcnt(1)
	v_cndmask_b32_e64 v2, v2, v3, s18
	v_cndmask_b32_e64 v5, v11, v3, s15
	;; [unrolled: 1-line block ×4, first 2 shown]
	s_waitcnt lgkmcnt(0)
	v_cndmask_b32_e64 v2, v2, v4, s19
	v_cndmask_b32_e64 v5, v5, v4, s16
	;; [unrolled: 1-line block ×4, first 2 shown]
	ds_bpermute_b32 v2, v9, v2
	ds_bpermute_b32 v5, v9, v5
	v_mov_b32_dpp v3, v3 quad_perm:[2,3,0,1] row_mask:0xf bank_mask:0xf
	s_waitcnt lgkmcnt(1)
	v_mov_b32_dpp v2, v2 quad_perm:[3,0,1,2] row_mask:0xf bank_mask:0xf
	s_waitcnt lgkmcnt(0)
	v_mov_b32_dpp v5, v5 quad_perm:[1,2,3,0] row_mask:0xf bank_mask:0xf
	s_delay_alu instid0(VALU_DEP_2) | instskip(SKIP_3) | instid1(VALU_DEP_4)
	v_cndmask_b32_e64 v4, v1, v2, s11
	v_cndmask_b32_e64 v6, v1, v2, s6
	;; [unrolled: 1-line block ×5, first 2 shown]
	s_delay_alu instid0(VALU_DEP_4) | instskip(NEXT) | instid1(VALU_DEP_4)
	v_cndmask_b32_e64 v4, v6, v3, s8
	v_cndmask_b32_e64 v6, v7, v3, s9
	s_delay_alu instid0(VALU_DEP_4) | instskip(NEXT) | instid1(VALU_DEP_4)
	v_cndmask_b32_e64 v1, v1, v3, s1
	v_cndmask_b32_e64 v2, v2, v5, s5
	;; [unrolled: 3-line block ×3, first 2 shown]
	s_delay_alu instid0(VALU_DEP_4) | instskip(NEXT) | instid1(VALU_DEP_4)
	v_cndmask_b32_e64 v5, v1, v5, s17
	v_mov_b32_dpp v6, v2 quad_perm:[1,2,3,0] row_mask:0xf bank_mask:0xf
	s_delay_alu instid0(VALU_DEP_4) | instskip(NEXT) | instid1(VALU_DEP_4)
	v_mov_b32_dpp v7, v3 quad_perm:[2,3,0,1] row_mask:0xf bank_mask:0xf
	v_mov_b32_dpp v8, v4 quad_perm:[3,0,1,2] row_mask:0xf bank_mask:0xf
.LBB19_4:
	v_lshlrev_b32_e32 v0, 2, v0
	global_store_b128 v0, v[5:8], s[22:23]
	s_nop 0
	s_sendmsg sendmsg(MSG_DEALLOC_VGPRS)
	s_endpgm
	.section	.rodata,"a",@progbits
	.p2align	6, 0x0
	.amdhsa_kernel _Z20warp_exchange_kernelILj4ELj8EN6common25StripedToBlockedShuffleOpEiEvPT2_S3_b
		.amdhsa_group_segment_fixed_size 0
		.amdhsa_private_segment_fixed_size 0
		.amdhsa_kernarg_size 20
		.amdhsa_user_sgpr_count 15
		.amdhsa_user_sgpr_dispatch_ptr 0
		.amdhsa_user_sgpr_queue_ptr 0
		.amdhsa_user_sgpr_kernarg_segment_ptr 1
		.amdhsa_user_sgpr_dispatch_id 0
		.amdhsa_user_sgpr_private_segment_size 0
		.amdhsa_wavefront_size32 1
		.amdhsa_uses_dynamic_stack 0
		.amdhsa_enable_private_segment 0
		.amdhsa_system_sgpr_workgroup_id_x 1
		.amdhsa_system_sgpr_workgroup_id_y 0
		.amdhsa_system_sgpr_workgroup_id_z 0
		.amdhsa_system_sgpr_workgroup_info 0
		.amdhsa_system_vgpr_workitem_id 0
		.amdhsa_next_free_vgpr 15
		.amdhsa_next_free_sgpr 25
		.amdhsa_reserve_vcc 1
		.amdhsa_float_round_mode_32 0
		.amdhsa_float_round_mode_16_64 0
		.amdhsa_float_denorm_mode_32 3
		.amdhsa_float_denorm_mode_16_64 3
		.amdhsa_dx10_clamp 1
		.amdhsa_ieee_mode 1
		.amdhsa_fp16_overflow 0
		.amdhsa_workgroup_processor_mode 1
		.amdhsa_memory_ordered 1
		.amdhsa_forward_progress 0
		.amdhsa_shared_vgpr_count 0
		.amdhsa_exception_fp_ieee_invalid_op 0
		.amdhsa_exception_fp_denorm_src 0
		.amdhsa_exception_fp_ieee_div_zero 0
		.amdhsa_exception_fp_ieee_overflow 0
		.amdhsa_exception_fp_ieee_underflow 0
		.amdhsa_exception_fp_ieee_inexact 0
		.amdhsa_exception_int_div_zero 0
	.end_amdhsa_kernel
	.section	.text._Z20warp_exchange_kernelILj4ELj8EN6common25StripedToBlockedShuffleOpEiEvPT2_S3_b,"axG",@progbits,_Z20warp_exchange_kernelILj4ELj8EN6common25StripedToBlockedShuffleOpEiEvPT2_S3_b,comdat
.Lfunc_end19:
	.size	_Z20warp_exchange_kernelILj4ELj8EN6common25StripedToBlockedShuffleOpEiEvPT2_S3_b, .Lfunc_end19-_Z20warp_exchange_kernelILj4ELj8EN6common25StripedToBlockedShuffleOpEiEvPT2_S3_b
                                        ; -- End function
	.section	.AMDGPU.csdata,"",@progbits
; Kernel info:
; codeLenInByte = 952
; NumSgprs: 27
; NumVgprs: 15
; ScratchSize: 0
; MemoryBound: 0
; FloatMode: 240
; IeeeMode: 1
; LDSByteSize: 0 bytes/workgroup (compile time only)
; SGPRBlocks: 3
; VGPRBlocks: 1
; NumSGPRsForWavesPerEU: 27
; NumVGPRsForWavesPerEU: 15
; Occupancy: 16
; WaveLimiterHint : 0
; COMPUTE_PGM_RSRC2:SCRATCH_EN: 0
; COMPUTE_PGM_RSRC2:USER_SGPR: 15
; COMPUTE_PGM_RSRC2:TRAP_HANDLER: 0
; COMPUTE_PGM_RSRC2:TGID_X_EN: 1
; COMPUTE_PGM_RSRC2:TGID_Y_EN: 0
; COMPUTE_PGM_RSRC2:TGID_Z_EN: 0
; COMPUTE_PGM_RSRC2:TIDIG_COMP_CNT: 0
	.section	.text._Z20warp_exchange_kernelILj4ELj8EN6common18StripedToBlockedOpE12hip_bfloat16EvPT2_S4_b,"axG",@progbits,_Z20warp_exchange_kernelILj4ELj8EN6common18StripedToBlockedOpE12hip_bfloat16EvPT2_S4_b,comdat
	.protected	_Z20warp_exchange_kernelILj4ELj8EN6common18StripedToBlockedOpE12hip_bfloat16EvPT2_S4_b ; -- Begin function _Z20warp_exchange_kernelILj4ELj8EN6common18StripedToBlockedOpE12hip_bfloat16EvPT2_S4_b
	.globl	_Z20warp_exchange_kernelILj4ELj8EN6common18StripedToBlockedOpE12hip_bfloat16EvPT2_S4_b
	.p2align	8
	.type	_Z20warp_exchange_kernelILj4ELj8EN6common18StripedToBlockedOpE12hip_bfloat16EvPT2_S4_b,@function
_Z20warp_exchange_kernelILj4ELj8EN6common18StripedToBlockedOpE12hip_bfloat16EvPT2_S4_b: ; @_Z20warp_exchange_kernelILj4ELj8EN6common18StripedToBlockedOpE12hip_bfloat16EvPT2_S4_b
; %bb.0:
	s_load_b128 s[4:7], s[0:1], 0x0
	v_lshlrev_b32_e32 v1, 3, v0
	s_load_b32 s0, s[0:1], 0x10
	v_mbcnt_lo_u32_b32 v4, -1, 0
	v_lshlrev_b32_e32 v3, 2, v0
	v_lshrrev_b32_e32 v7, 3, v0
	s_delay_alu instid0(VALU_DEP_3)
	v_and_b32_e32 v0, 7, v4
	s_waitcnt lgkmcnt(0)
	global_load_b64 v[1:2], v1, s[4:5]
	s_bitcmp0_b32 s0, 0
	s_mov_b32 s0, -1
	s_waitcnt vmcnt(0)
	v_lshrrev_b32_e32 v6, 16, v1
	v_lshrrev_b32_e32 v5, 16, v2
	s_cbranch_scc0 .LBB20_2
; %bb.1:
	v_lshl_add_u32 v4, v7, 6, 0x100
	s_delay_alu instid0(VALU_DEP_1)
	v_lshl_or_b32 v8, v0, 1, v4
	ds_store_b16 v8, v1
	ds_store_b16 v8, v6 offset:16
	ds_store_b16 v8, v2 offset:32
	;; [unrolled: 1-line block ×3, first 2 shown]
	; wave barrier
	s_cbranch_execz .LBB20_3
	s_branch .LBB20_4
.LBB20_2:
                                        ; implicit-def: $vgpr4
	s_and_not1_b32 vcc_lo, exec_lo, s0
	s_cbranch_vccnz .LBB20_4
.LBB20_3:
	v_lshlrev_b32_e32 v4, 6, v7
	s_delay_alu instid0(VALU_DEP_1)
	v_lshl_or_b32 v7, v0, 1, v4
	ds_store_b16 v7, v1
	ds_store_b16 v7, v6 offset:16
	ds_store_b16 v7, v2 offset:32
	;; [unrolled: 1-line block ×3, first 2 shown]
	; wave barrier
.LBB20_4:
	v_lshl_add_u32 v0, v0, 3, v4
	v_lshlrev_b32_e32 v2, 1, v3
	ds_load_b64 v[0:1], v0
	s_waitcnt lgkmcnt(0)
	global_store_b64 v2, v[0:1], s[6:7]
	s_nop 0
	s_sendmsg sendmsg(MSG_DEALLOC_VGPRS)
	s_endpgm
	.section	.rodata,"a",@progbits
	.p2align	6, 0x0
	.amdhsa_kernel _Z20warp_exchange_kernelILj4ELj8EN6common18StripedToBlockedOpE12hip_bfloat16EvPT2_S4_b
		.amdhsa_group_segment_fixed_size 512
		.amdhsa_private_segment_fixed_size 0
		.amdhsa_kernarg_size 20
		.amdhsa_user_sgpr_count 15
		.amdhsa_user_sgpr_dispatch_ptr 0
		.amdhsa_user_sgpr_queue_ptr 0
		.amdhsa_user_sgpr_kernarg_segment_ptr 1
		.amdhsa_user_sgpr_dispatch_id 0
		.amdhsa_user_sgpr_private_segment_size 0
		.amdhsa_wavefront_size32 1
		.amdhsa_uses_dynamic_stack 0
		.amdhsa_enable_private_segment 0
		.amdhsa_system_sgpr_workgroup_id_x 1
		.amdhsa_system_sgpr_workgroup_id_y 0
		.amdhsa_system_sgpr_workgroup_id_z 0
		.amdhsa_system_sgpr_workgroup_info 0
		.amdhsa_system_vgpr_workitem_id 0
		.amdhsa_next_free_vgpr 9
		.amdhsa_next_free_sgpr 8
		.amdhsa_reserve_vcc 1
		.amdhsa_float_round_mode_32 0
		.amdhsa_float_round_mode_16_64 0
		.amdhsa_float_denorm_mode_32 3
		.amdhsa_float_denorm_mode_16_64 3
		.amdhsa_dx10_clamp 1
		.amdhsa_ieee_mode 1
		.amdhsa_fp16_overflow 0
		.amdhsa_workgroup_processor_mode 1
		.amdhsa_memory_ordered 1
		.amdhsa_forward_progress 0
		.amdhsa_shared_vgpr_count 0
		.amdhsa_exception_fp_ieee_invalid_op 0
		.amdhsa_exception_fp_denorm_src 0
		.amdhsa_exception_fp_ieee_div_zero 0
		.amdhsa_exception_fp_ieee_overflow 0
		.amdhsa_exception_fp_ieee_underflow 0
		.amdhsa_exception_fp_ieee_inexact 0
		.amdhsa_exception_int_div_zero 0
	.end_amdhsa_kernel
	.section	.text._Z20warp_exchange_kernelILj4ELj8EN6common18StripedToBlockedOpE12hip_bfloat16EvPT2_S4_b,"axG",@progbits,_Z20warp_exchange_kernelILj4ELj8EN6common18StripedToBlockedOpE12hip_bfloat16EvPT2_S4_b,comdat
.Lfunc_end20:
	.size	_Z20warp_exchange_kernelILj4ELj8EN6common18StripedToBlockedOpE12hip_bfloat16EvPT2_S4_b, .Lfunc_end20-_Z20warp_exchange_kernelILj4ELj8EN6common18StripedToBlockedOpE12hip_bfloat16EvPT2_S4_b
                                        ; -- End function
	.section	.AMDGPU.csdata,"",@progbits
; Kernel info:
; codeLenInByte = 244
; NumSgprs: 10
; NumVgprs: 9
; ScratchSize: 0
; MemoryBound: 0
; FloatMode: 240
; IeeeMode: 1
; LDSByteSize: 512 bytes/workgroup (compile time only)
; SGPRBlocks: 1
; VGPRBlocks: 1
; NumSGPRsForWavesPerEU: 10
; NumVGPRsForWavesPerEU: 9
; Occupancy: 16
; WaveLimiterHint : 0
; COMPUTE_PGM_RSRC2:SCRATCH_EN: 0
; COMPUTE_PGM_RSRC2:USER_SGPR: 15
; COMPUTE_PGM_RSRC2:TRAP_HANDLER: 0
; COMPUTE_PGM_RSRC2:TGID_X_EN: 1
; COMPUTE_PGM_RSRC2:TGID_Y_EN: 0
; COMPUTE_PGM_RSRC2:TGID_Z_EN: 0
; COMPUTE_PGM_RSRC2:TIDIG_COMP_CNT: 0
	.section	.text._Z20warp_exchange_kernelILj5ELj32EN6common18StripedToBlockedOpEdEvPT2_S3_b,"axG",@progbits,_Z20warp_exchange_kernelILj5ELj32EN6common18StripedToBlockedOpEdEvPT2_S3_b,comdat
	.protected	_Z20warp_exchange_kernelILj5ELj32EN6common18StripedToBlockedOpEdEvPT2_S3_b ; -- Begin function _Z20warp_exchange_kernelILj5ELj32EN6common18StripedToBlockedOpEdEvPT2_S3_b
	.globl	_Z20warp_exchange_kernelILj5ELj32EN6common18StripedToBlockedOpEdEvPT2_S3_b
	.p2align	8
	.type	_Z20warp_exchange_kernelILj5ELj32EN6common18StripedToBlockedOpEdEvPT2_S3_b,@function
_Z20warp_exchange_kernelILj5ELj32EN6common18StripedToBlockedOpEdEvPT2_S3_b: ; @_Z20warp_exchange_kernelILj5ELj32EN6common18StripedToBlockedOpEdEvPT2_S3_b
; %bb.0:
	s_load_b128 s[4:7], s[0:1], 0x0
	v_mul_u32_u24_e32 v1, 5, v0
	s_load_b32 s0, s[0:1], 0x10
	v_lshrrev_b32_e32 v13, 5, v0
	v_mbcnt_lo_u32_b32 v0, -1, 0
	s_delay_alu instid0(VALU_DEP_3)
	v_lshlrev_b32_e32 v11, 3, v1
	s_waitcnt lgkmcnt(0)
	s_clause 0x2
	global_load_b64 v[9:10], v11, s[4:5] offset:32
	global_load_b128 v[1:4], v11, s[4:5] offset:16
	global_load_b128 v[5:8], v11, s[4:5]
	s_bitcmp0_b32 s0, 0
	s_mov_b32 s0, -1
	s_cbranch_scc0 .LBB21_2
; %bb.1:
	v_mad_u32_u24 v12, 0x500, v13, 0x500
	s_delay_alu instid0(VALU_DEP_1)
	v_lshl_or_b32 v14, v0, 3, v12
	s_waitcnt vmcnt(0)
	ds_store_2addr_b64 v14, v[5:6], v[7:8] offset1:32
	ds_store_2addr_b64 v14, v[1:2], v[3:4] offset0:64 offset1:96
	ds_store_b64 v14, v[9:10] offset:1024
	; wave barrier
	s_cbranch_execz .LBB21_3
	s_branch .LBB21_4
.LBB21_2:
                                        ; implicit-def: $vgpr12
	s_and_not1_b32 vcc_lo, exec_lo, s0
	s_cbranch_vccnz .LBB21_4
.LBB21_3:
	v_mul_u32_u24_e32 v12, 0x500, v13
	s_delay_alu instid0(VALU_DEP_1)
	v_lshl_or_b32 v13, v0, 3, v12
	s_waitcnt vmcnt(0)
	ds_store_2addr_b64 v13, v[5:6], v[7:8] offset1:32
	ds_store_2addr_b64 v13, v[1:2], v[3:4] offset0:64 offset1:96
	ds_store_b64 v13, v[9:10] offset:1024
	; wave barrier
.LBB21_4:
	s_waitcnt vmcnt(0)
	v_mad_u32_u24 v8, v0, 40, v12
	ds_load_2addr_b64 v[0:3], v8 offset1:1
	ds_load_2addr_b64 v[4:7], v8 offset0:2 offset1:3
	ds_load_b64 v[8:9], v8 offset:32
	s_waitcnt lgkmcnt(2)
	global_store_b128 v11, v[0:3], s[6:7]
	s_waitcnt lgkmcnt(1)
	global_store_b128 v11, v[4:7], s[6:7] offset:16
	s_waitcnt lgkmcnt(0)
	global_store_b64 v11, v[8:9], s[6:7] offset:32
	s_nop 0
	s_sendmsg sendmsg(MSG_DEALLOC_VGPRS)
	s_endpgm
	.section	.rodata,"a",@progbits
	.p2align	6, 0x0
	.amdhsa_kernel _Z20warp_exchange_kernelILj5ELj32EN6common18StripedToBlockedOpEdEvPT2_S3_b
		.amdhsa_group_segment_fixed_size 2560
		.amdhsa_private_segment_fixed_size 0
		.amdhsa_kernarg_size 20
		.amdhsa_user_sgpr_count 15
		.amdhsa_user_sgpr_dispatch_ptr 0
		.amdhsa_user_sgpr_queue_ptr 0
		.amdhsa_user_sgpr_kernarg_segment_ptr 1
		.amdhsa_user_sgpr_dispatch_id 0
		.amdhsa_user_sgpr_private_segment_size 0
		.amdhsa_wavefront_size32 1
		.amdhsa_uses_dynamic_stack 0
		.amdhsa_enable_private_segment 0
		.amdhsa_system_sgpr_workgroup_id_x 1
		.amdhsa_system_sgpr_workgroup_id_y 0
		.amdhsa_system_sgpr_workgroup_id_z 0
		.amdhsa_system_sgpr_workgroup_info 0
		.amdhsa_system_vgpr_workitem_id 0
		.amdhsa_next_free_vgpr 15
		.amdhsa_next_free_sgpr 8
		.amdhsa_reserve_vcc 1
		.amdhsa_float_round_mode_32 0
		.amdhsa_float_round_mode_16_64 0
		.amdhsa_float_denorm_mode_32 3
		.amdhsa_float_denorm_mode_16_64 3
		.amdhsa_dx10_clamp 1
		.amdhsa_ieee_mode 1
		.amdhsa_fp16_overflow 0
		.amdhsa_workgroup_processor_mode 1
		.amdhsa_memory_ordered 1
		.amdhsa_forward_progress 0
		.amdhsa_shared_vgpr_count 0
		.amdhsa_exception_fp_ieee_invalid_op 0
		.amdhsa_exception_fp_denorm_src 0
		.amdhsa_exception_fp_ieee_div_zero 0
		.amdhsa_exception_fp_ieee_overflow 0
		.amdhsa_exception_fp_ieee_underflow 0
		.amdhsa_exception_fp_ieee_inexact 0
		.amdhsa_exception_int_div_zero 0
	.end_amdhsa_kernel
	.section	.text._Z20warp_exchange_kernelILj5ELj32EN6common18StripedToBlockedOpEdEvPT2_S3_b,"axG",@progbits,_Z20warp_exchange_kernelILj5ELj32EN6common18StripedToBlockedOpEdEvPT2_S3_b,comdat
.Lfunc_end21:
	.size	_Z20warp_exchange_kernelILj5ELj32EN6common18StripedToBlockedOpEdEvPT2_S3_b, .Lfunc_end21-_Z20warp_exchange_kernelILj5ELj32EN6common18StripedToBlockedOpEdEvPT2_S3_b
                                        ; -- End function
	.section	.AMDGPU.csdata,"",@progbits
; Kernel info:
; codeLenInByte = 284
; NumSgprs: 10
; NumVgprs: 15
; ScratchSize: 0
; MemoryBound: 1
; FloatMode: 240
; IeeeMode: 1
; LDSByteSize: 2560 bytes/workgroup (compile time only)
; SGPRBlocks: 1
; VGPRBlocks: 1
; NumSGPRsForWavesPerEU: 10
; NumVGPRsForWavesPerEU: 15
; Occupancy: 16
; WaveLimiterHint : 1
; COMPUTE_PGM_RSRC2:SCRATCH_EN: 0
; COMPUTE_PGM_RSRC2:USER_SGPR: 15
; COMPUTE_PGM_RSRC2:TRAP_HANDLER: 0
; COMPUTE_PGM_RSRC2:TGID_X_EN: 1
; COMPUTE_PGM_RSRC2:TGID_Y_EN: 0
; COMPUTE_PGM_RSRC2:TGID_Z_EN: 0
; COMPUTE_PGM_RSRC2:TIDIG_COMP_CNT: 0
	.section	.text._Z20warp_exchange_kernelILj4ELj32EN6common18StripedToBlockedOpEfEvPT2_S3_b,"axG",@progbits,_Z20warp_exchange_kernelILj4ELj32EN6common18StripedToBlockedOpEfEvPT2_S3_b,comdat
	.protected	_Z20warp_exchange_kernelILj4ELj32EN6common18StripedToBlockedOpEfEvPT2_S3_b ; -- Begin function _Z20warp_exchange_kernelILj4ELj32EN6common18StripedToBlockedOpEfEvPT2_S3_b
	.globl	_Z20warp_exchange_kernelILj4ELj32EN6common18StripedToBlockedOpEfEvPT2_S3_b
	.p2align	8
	.type	_Z20warp_exchange_kernelILj4ELj32EN6common18StripedToBlockedOpEfEvPT2_S3_b,@function
_Z20warp_exchange_kernelILj4ELj32EN6common18StripedToBlockedOpEfEvPT2_S3_b: ; @_Z20warp_exchange_kernelILj4ELj32EN6common18StripedToBlockedOpEfEvPT2_S3_b
; %bb.0:
	s_load_b128 s[4:7], s[0:1], 0x0
	v_lshlrev_b32_e32 v1, 4, v0
	s_load_b32 s0, s[0:1], 0x10
	v_lshlrev_b32_e32 v5, 2, v0
	v_lshrrev_b32_e32 v7, 5, v0
	v_mbcnt_lo_u32_b32 v0, -1, 0
	s_waitcnt lgkmcnt(0)
	global_load_b128 v[1:4], v1, s[4:5]
	s_bitcmp0_b32 s0, 0
	s_mov_b32 s0, -1
	s_cbranch_scc0 .LBB22_2
; %bb.1:
	v_lshl_add_u32 v6, v7, 9, 0x200
	s_delay_alu instid0(VALU_DEP_1)
	v_lshl_or_b32 v8, v0, 2, v6
	s_waitcnt vmcnt(0)
	ds_store_2addr_b32 v8, v1, v2 offset1:32
	ds_store_2addr_b32 v8, v3, v4 offset0:64 offset1:96
	; wave barrier
	s_cbranch_execz .LBB22_3
	s_branch .LBB22_4
.LBB22_2:
                                        ; implicit-def: $vgpr6
	s_and_not1_b32 vcc_lo, exec_lo, s0
	s_cbranch_vccnz .LBB22_4
.LBB22_3:
	v_lshlrev_b32_e32 v6, 9, v7
	s_delay_alu instid0(VALU_DEP_1)
	v_lshl_or_b32 v7, v0, 2, v6
	s_waitcnt vmcnt(0)
	ds_store_2addr_b32 v7, v1, v2 offset1:32
	ds_store_2addr_b32 v7, v3, v4 offset0:64 offset1:96
	; wave barrier
.LBB22_4:
	s_waitcnt vmcnt(0)
	v_lshl_add_u32 v2, v0, 4, v6
	v_lshlrev_b32_e32 v4, 2, v5
	ds_load_2addr_b32 v[0:1], v2 offset1:1
	ds_load_2addr_b32 v[2:3], v2 offset0:2 offset1:3
	s_waitcnt lgkmcnt(0)
	global_store_b128 v4, v[0:3], s[6:7]
	s_nop 0
	s_sendmsg sendmsg(MSG_DEALLOC_VGPRS)
	s_endpgm
	.section	.rodata,"a",@progbits
	.p2align	6, 0x0
	.amdhsa_kernel _Z20warp_exchange_kernelILj4ELj32EN6common18StripedToBlockedOpEfEvPT2_S3_b
		.amdhsa_group_segment_fixed_size 1024
		.amdhsa_private_segment_fixed_size 0
		.amdhsa_kernarg_size 20
		.amdhsa_user_sgpr_count 15
		.amdhsa_user_sgpr_dispatch_ptr 0
		.amdhsa_user_sgpr_queue_ptr 0
		.amdhsa_user_sgpr_kernarg_segment_ptr 1
		.amdhsa_user_sgpr_dispatch_id 0
		.amdhsa_user_sgpr_private_segment_size 0
		.amdhsa_wavefront_size32 1
		.amdhsa_uses_dynamic_stack 0
		.amdhsa_enable_private_segment 0
		.amdhsa_system_sgpr_workgroup_id_x 1
		.amdhsa_system_sgpr_workgroup_id_y 0
		.amdhsa_system_sgpr_workgroup_id_z 0
		.amdhsa_system_sgpr_workgroup_info 0
		.amdhsa_system_vgpr_workitem_id 0
		.amdhsa_next_free_vgpr 9
		.amdhsa_next_free_sgpr 8
		.amdhsa_reserve_vcc 1
		.amdhsa_float_round_mode_32 0
		.amdhsa_float_round_mode_16_64 0
		.amdhsa_float_denorm_mode_32 3
		.amdhsa_float_denorm_mode_16_64 3
		.amdhsa_dx10_clamp 1
		.amdhsa_ieee_mode 1
		.amdhsa_fp16_overflow 0
		.amdhsa_workgroup_processor_mode 1
		.amdhsa_memory_ordered 1
		.amdhsa_forward_progress 0
		.amdhsa_shared_vgpr_count 0
		.amdhsa_exception_fp_ieee_invalid_op 0
		.amdhsa_exception_fp_denorm_src 0
		.amdhsa_exception_fp_ieee_div_zero 0
		.amdhsa_exception_fp_ieee_overflow 0
		.amdhsa_exception_fp_ieee_underflow 0
		.amdhsa_exception_fp_ieee_inexact 0
		.amdhsa_exception_int_div_zero 0
	.end_amdhsa_kernel
	.section	.text._Z20warp_exchange_kernelILj4ELj32EN6common18StripedToBlockedOpEfEvPT2_S3_b,"axG",@progbits,_Z20warp_exchange_kernelILj4ELj32EN6common18StripedToBlockedOpEfEvPT2_S3_b,comdat
.Lfunc_end22:
	.size	_Z20warp_exchange_kernelILj4ELj32EN6common18StripedToBlockedOpEfEvPT2_S3_b, .Lfunc_end22-_Z20warp_exchange_kernelILj4ELj32EN6common18StripedToBlockedOpEfEvPT2_S3_b
                                        ; -- End function
	.section	.AMDGPU.csdata,"",@progbits
; Kernel info:
; codeLenInByte = 212
; NumSgprs: 10
; NumVgprs: 9
; ScratchSize: 0
; MemoryBound: 0
; FloatMode: 240
; IeeeMode: 1
; LDSByteSize: 1024 bytes/workgroup (compile time only)
; SGPRBlocks: 1
; VGPRBlocks: 1
; NumSGPRsForWavesPerEU: 10
; NumVGPRsForWavesPerEU: 9
; Occupancy: 16
; WaveLimiterHint : 0
; COMPUTE_PGM_RSRC2:SCRATCH_EN: 0
; COMPUTE_PGM_RSRC2:USER_SGPR: 15
; COMPUTE_PGM_RSRC2:TRAP_HANDLER: 0
; COMPUTE_PGM_RSRC2:TGID_X_EN: 1
; COMPUTE_PGM_RSRC2:TGID_Y_EN: 0
; COMPUTE_PGM_RSRC2:TGID_Z_EN: 0
; COMPUTE_PGM_RSRC2:TIDIG_COMP_CNT: 0
	.section	.text._Z20warp_exchange_kernelILj4ELj64EN6common18StripedToBlockedOpElEvPT2_S3_b,"axG",@progbits,_Z20warp_exchange_kernelILj4ELj64EN6common18StripedToBlockedOpElEvPT2_S3_b,comdat
	.protected	_Z20warp_exchange_kernelILj4ELj64EN6common18StripedToBlockedOpElEvPT2_S3_b ; -- Begin function _Z20warp_exchange_kernelILj4ELj64EN6common18StripedToBlockedOpElEvPT2_S3_b
	.globl	_Z20warp_exchange_kernelILj4ELj64EN6common18StripedToBlockedOpElEvPT2_S3_b
	.p2align	8
	.type	_Z20warp_exchange_kernelILj4ELj64EN6common18StripedToBlockedOpElEvPT2_S3_b,@function
_Z20warp_exchange_kernelILj4ELj64EN6common18StripedToBlockedOpElEvPT2_S3_b: ; @_Z20warp_exchange_kernelILj4ELj64EN6common18StripedToBlockedOpElEvPT2_S3_b
; %bb.0:
	s_endpgm
	.section	.rodata,"a",@progbits
	.p2align	6, 0x0
	.amdhsa_kernel _Z20warp_exchange_kernelILj4ELj64EN6common18StripedToBlockedOpElEvPT2_S3_b
		.amdhsa_group_segment_fixed_size 0
		.amdhsa_private_segment_fixed_size 0
		.amdhsa_kernarg_size 20
		.amdhsa_user_sgpr_count 15
		.amdhsa_user_sgpr_dispatch_ptr 0
		.amdhsa_user_sgpr_queue_ptr 0
		.amdhsa_user_sgpr_kernarg_segment_ptr 1
		.amdhsa_user_sgpr_dispatch_id 0
		.amdhsa_user_sgpr_private_segment_size 0
		.amdhsa_wavefront_size32 1
		.amdhsa_uses_dynamic_stack 0
		.amdhsa_enable_private_segment 0
		.amdhsa_system_sgpr_workgroup_id_x 1
		.amdhsa_system_sgpr_workgroup_id_y 0
		.amdhsa_system_sgpr_workgroup_id_z 0
		.amdhsa_system_sgpr_workgroup_info 0
		.amdhsa_system_vgpr_workitem_id 0
		.amdhsa_next_free_vgpr 1
		.amdhsa_next_free_sgpr 1
		.amdhsa_reserve_vcc 0
		.amdhsa_float_round_mode_32 0
		.amdhsa_float_round_mode_16_64 0
		.amdhsa_float_denorm_mode_32 3
		.amdhsa_float_denorm_mode_16_64 3
		.amdhsa_dx10_clamp 1
		.amdhsa_ieee_mode 1
		.amdhsa_fp16_overflow 0
		.amdhsa_workgroup_processor_mode 1
		.amdhsa_memory_ordered 1
		.amdhsa_forward_progress 0
		.amdhsa_shared_vgpr_count 0
		.amdhsa_exception_fp_ieee_invalid_op 0
		.amdhsa_exception_fp_denorm_src 0
		.amdhsa_exception_fp_ieee_div_zero 0
		.amdhsa_exception_fp_ieee_overflow 0
		.amdhsa_exception_fp_ieee_underflow 0
		.amdhsa_exception_fp_ieee_inexact 0
		.amdhsa_exception_int_div_zero 0
	.end_amdhsa_kernel
	.section	.text._Z20warp_exchange_kernelILj4ELj64EN6common18StripedToBlockedOpElEvPT2_S3_b,"axG",@progbits,_Z20warp_exchange_kernelILj4ELj64EN6common18StripedToBlockedOpElEvPT2_S3_b,comdat
.Lfunc_end23:
	.size	_Z20warp_exchange_kernelILj4ELj64EN6common18StripedToBlockedOpElEvPT2_S3_b, .Lfunc_end23-_Z20warp_exchange_kernelILj4ELj64EN6common18StripedToBlockedOpElEvPT2_S3_b
                                        ; -- End function
	.section	.AMDGPU.csdata,"",@progbits
; Kernel info:
; codeLenInByte = 4
; NumSgprs: 0
; NumVgprs: 0
; ScratchSize: 0
; MemoryBound: 0
; FloatMode: 240
; IeeeMode: 1
; LDSByteSize: 0 bytes/workgroup (compile time only)
; SGPRBlocks: 0
; VGPRBlocks: 0
; NumSGPRsForWavesPerEU: 1
; NumVGPRsForWavesPerEU: 1
; Occupancy: 16
; WaveLimiterHint : 0
; COMPUTE_PGM_RSRC2:SCRATCH_EN: 0
; COMPUTE_PGM_RSRC2:USER_SGPR: 15
; COMPUTE_PGM_RSRC2:TRAP_HANDLER: 0
; COMPUTE_PGM_RSRC2:TGID_X_EN: 1
; COMPUTE_PGM_RSRC2:TGID_Y_EN: 0
; COMPUTE_PGM_RSRC2:TGID_Z_EN: 0
; COMPUTE_PGM_RSRC2:TIDIG_COMP_CNT: 0
	.section	.text._Z20warp_exchange_kernelILj2ELj32EN6common18StripedToBlockedOpEsEvPT2_S3_b,"axG",@progbits,_Z20warp_exchange_kernelILj2ELj32EN6common18StripedToBlockedOpEsEvPT2_S3_b,comdat
	.protected	_Z20warp_exchange_kernelILj2ELj32EN6common18StripedToBlockedOpEsEvPT2_S3_b ; -- Begin function _Z20warp_exchange_kernelILj2ELj32EN6common18StripedToBlockedOpEsEvPT2_S3_b
	.globl	_Z20warp_exchange_kernelILj2ELj32EN6common18StripedToBlockedOpEsEvPT2_S3_b
	.p2align	8
	.type	_Z20warp_exchange_kernelILj2ELj32EN6common18StripedToBlockedOpEsEvPT2_S3_b,@function
_Z20warp_exchange_kernelILj2ELj32EN6common18StripedToBlockedOpEsEvPT2_S3_b: ; @_Z20warp_exchange_kernelILj2ELj32EN6common18StripedToBlockedOpEsEvPT2_S3_b
; %bb.0:
	s_load_b128 s[4:7], s[0:1], 0x0
	v_lshlrev_b32_e32 v1, 2, v0
	s_load_b32 s0, s[0:1], 0x10
	v_mbcnt_lo_u32_b32 v2, -1, 0
	s_mov_b32 s1, -1
	s_delay_alu instid0(VALU_DEP_1)
	v_lshlrev_b32_e32 v5, 1, v2
	s_waitcnt lgkmcnt(0)
	global_load_b32 v3, v1, s[4:5]
	v_lshlrev_b32_e32 v1, 1, v0
	v_lshrrev_b32_e32 v0, 5, v0
	s_bitcmp0_b32 s0, 0
                                        ; implicit-def: $sgpr0
	s_waitcnt vmcnt(0)
	v_lshrrev_b32_e32 v4, 16, v3
	s_cbranch_scc0 .LBB24_2
; %bb.1:
	v_lshl_or_b32 v6, v0, 7, v5
	s_movk_i32 s0, 0x80
	s_mov_b32 s1, 0
	ds_store_b16 v6, v3 offset:128
	ds_store_b16 v6, v4 offset:192
	; wave barrier
.LBB24_2:
	s_and_not1_b32 vcc_lo, exec_lo, s1
	s_cbranch_vccnz .LBB24_4
; %bb.3:
	v_lshl_or_b32 v5, v0, 7, v5
	s_mov_b32 s0, 0
	ds_store_b16 v5, v3
	ds_store_b16 v5, v4 offset:64
	; wave barrier
.LBB24_4:
	v_lshlrev_b32_e32 v0, 7, v0
	v_lshlrev_b32_e32 v2, 2, v2
	;; [unrolled: 1-line block ×3, first 2 shown]
	s_delay_alu instid0(VALU_DEP_2)
	v_add3_u32 v0, s0, v0, v2
	ds_load_b32 v0, v0
	s_waitcnt lgkmcnt(0)
	global_store_b32 v1, v0, s[6:7]
	s_nop 0
	s_sendmsg sendmsg(MSG_DEALLOC_VGPRS)
	s_endpgm
	.section	.rodata,"a",@progbits
	.p2align	6, 0x0
	.amdhsa_kernel _Z20warp_exchange_kernelILj2ELj32EN6common18StripedToBlockedOpEsEvPT2_S3_b
		.amdhsa_group_segment_fixed_size 256
		.amdhsa_private_segment_fixed_size 0
		.amdhsa_kernarg_size 20
		.amdhsa_user_sgpr_count 15
		.amdhsa_user_sgpr_dispatch_ptr 0
		.amdhsa_user_sgpr_queue_ptr 0
		.amdhsa_user_sgpr_kernarg_segment_ptr 1
		.amdhsa_user_sgpr_dispatch_id 0
		.amdhsa_user_sgpr_private_segment_size 0
		.amdhsa_wavefront_size32 1
		.amdhsa_uses_dynamic_stack 0
		.amdhsa_enable_private_segment 0
		.amdhsa_system_sgpr_workgroup_id_x 1
		.amdhsa_system_sgpr_workgroup_id_y 0
		.amdhsa_system_sgpr_workgroup_id_z 0
		.amdhsa_system_sgpr_workgroup_info 0
		.amdhsa_system_vgpr_workitem_id 0
		.amdhsa_next_free_vgpr 7
		.amdhsa_next_free_sgpr 8
		.amdhsa_reserve_vcc 1
		.amdhsa_float_round_mode_32 0
		.amdhsa_float_round_mode_16_64 0
		.amdhsa_float_denorm_mode_32 3
		.amdhsa_float_denorm_mode_16_64 3
		.amdhsa_dx10_clamp 1
		.amdhsa_ieee_mode 1
		.amdhsa_fp16_overflow 0
		.amdhsa_workgroup_processor_mode 1
		.amdhsa_memory_ordered 1
		.amdhsa_forward_progress 0
		.amdhsa_shared_vgpr_count 0
		.amdhsa_exception_fp_ieee_invalid_op 0
		.amdhsa_exception_fp_denorm_src 0
		.amdhsa_exception_fp_ieee_div_zero 0
		.amdhsa_exception_fp_ieee_overflow 0
		.amdhsa_exception_fp_ieee_underflow 0
		.amdhsa_exception_fp_ieee_inexact 0
		.amdhsa_exception_int_div_zero 0
	.end_amdhsa_kernel
	.section	.text._Z20warp_exchange_kernelILj2ELj32EN6common18StripedToBlockedOpEsEvPT2_S3_b,"axG",@progbits,_Z20warp_exchange_kernelILj2ELj32EN6common18StripedToBlockedOpEsEvPT2_S3_b,comdat
.Lfunc_end24:
	.size	_Z20warp_exchange_kernelILj2ELj32EN6common18StripedToBlockedOpEsEvPT2_S3_b, .Lfunc_end24-_Z20warp_exchange_kernelILj2ELj32EN6common18StripedToBlockedOpEsEvPT2_S3_b
                                        ; -- End function
	.section	.AMDGPU.csdata,"",@progbits
; Kernel info:
; codeLenInByte = 200
; NumSgprs: 10
; NumVgprs: 7
; ScratchSize: 0
; MemoryBound: 0
; FloatMode: 240
; IeeeMode: 1
; LDSByteSize: 256 bytes/workgroup (compile time only)
; SGPRBlocks: 1
; VGPRBlocks: 0
; NumSGPRsForWavesPerEU: 10
; NumVGPRsForWavesPerEU: 7
; Occupancy: 16
; WaveLimiterHint : 0
; COMPUTE_PGM_RSRC2:SCRATCH_EN: 0
; COMPUTE_PGM_RSRC2:USER_SGPR: 15
; COMPUTE_PGM_RSRC2:TRAP_HANDLER: 0
; COMPUTE_PGM_RSRC2:TGID_X_EN: 1
; COMPUTE_PGM_RSRC2:TGID_Y_EN: 0
; COMPUTE_PGM_RSRC2:TGID_Z_EN: 0
; COMPUTE_PGM_RSRC2:TIDIG_COMP_CNT: 0
	.section	.text._Z20warp_exchange_kernelILj4ELj16EN6common18StripedToBlockedOpEaEvPT2_S3_b,"axG",@progbits,_Z20warp_exchange_kernelILj4ELj16EN6common18StripedToBlockedOpEaEvPT2_S3_b,comdat
	.protected	_Z20warp_exchange_kernelILj4ELj16EN6common18StripedToBlockedOpEaEvPT2_S3_b ; -- Begin function _Z20warp_exchange_kernelILj4ELj16EN6common18StripedToBlockedOpEaEvPT2_S3_b
	.globl	_Z20warp_exchange_kernelILj4ELj16EN6common18StripedToBlockedOpEaEvPT2_S3_b
	.p2align	8
	.type	_Z20warp_exchange_kernelILj4ELj16EN6common18StripedToBlockedOpEaEvPT2_S3_b,@function
_Z20warp_exchange_kernelILj4ELj16EN6common18StripedToBlockedOpEaEvPT2_S3_b: ; @_Z20warp_exchange_kernelILj4ELj16EN6common18StripedToBlockedOpEaEvPT2_S3_b
; %bb.0:
	s_load_b128 s[4:7], s[0:1], 0x0
	v_lshlrev_b32_e32 v1, 2, v0
	s_load_b32 s0, s[0:1], 0x10
	v_mbcnt_lo_u32_b32 v4, -1, 0
	v_lshrrev_b32_e32 v2, 4, v0
	s_mov_b32 s1, -1
	s_delay_alu instid0(VALU_DEP_2) | instskip(NEXT) | instid1(VALU_DEP_1)
	v_and_b32_e32 v0, 15, v4
	v_lshl_or_b32 v7, v2, 6, v0
	s_waitcnt lgkmcnt(0)
	global_load_b32 v3, v1, s[4:5]
	s_bitcmp0_b32 s0, 0
                                        ; implicit-def: $sgpr0
	s_waitcnt vmcnt(0)
	v_lshrrev_b32_e32 v4, 16, v3
	v_lshrrev_b32_e32 v6, 8, v3
	;; [unrolled: 1-line block ×3, first 2 shown]
	s_cbranch_scc0 .LBB25_2
; %bb.1:
	ds_store_b8 v7, v3 offset:128
	ds_store_b8 v7, v6 offset:144
	;; [unrolled: 1-line block ×4, first 2 shown]
	s_movk_i32 s0, 0x80
	s_mov_b32 s1, 0
	; wave barrier
.LBB25_2:
	s_delay_alu instid0(SALU_CYCLE_1)
	s_and_not1_b32 vcc_lo, exec_lo, s1
	s_cbranch_vccnz .LBB25_4
; %bb.3:
	s_mov_b32 s0, 0
	ds_store_b8 v7, v3
	ds_store_b8 v7, v6 offset:16
	ds_store_b8 v7, v4 offset:32
	;; [unrolled: 1-line block ×3, first 2 shown]
	; wave barrier
.LBB25_4:
	v_lshlrev_b32_e32 v2, 6, v2
	v_lshlrev_b32_e32 v0, 2, v0
	s_delay_alu instid0(VALU_DEP_1) | instskip(SKIP_2) | instid1(VALU_DEP_1)
	v_add3_u32 v0, s0, v2, v0
	ds_load_b32 v2, v0
	v_add_co_u32 v0, s0, s6, v1
	v_add_co_ci_u32_e64 v1, null, s7, 0, s0
	s_waitcnt lgkmcnt(0)
	global_store_b32 v[0:1], v2, off
	s_nop 0
	s_sendmsg sendmsg(MSG_DEALLOC_VGPRS)
	s_endpgm
	.section	.rodata,"a",@progbits
	.p2align	6, 0x0
	.amdhsa_kernel _Z20warp_exchange_kernelILj4ELj16EN6common18StripedToBlockedOpEaEvPT2_S3_b
		.amdhsa_group_segment_fixed_size 256
		.amdhsa_private_segment_fixed_size 0
		.amdhsa_kernarg_size 20
		.amdhsa_user_sgpr_count 15
		.amdhsa_user_sgpr_dispatch_ptr 0
		.amdhsa_user_sgpr_queue_ptr 0
		.amdhsa_user_sgpr_kernarg_segment_ptr 1
		.amdhsa_user_sgpr_dispatch_id 0
		.amdhsa_user_sgpr_private_segment_size 0
		.amdhsa_wavefront_size32 1
		.amdhsa_uses_dynamic_stack 0
		.amdhsa_enable_private_segment 0
		.amdhsa_system_sgpr_workgroup_id_x 1
		.amdhsa_system_sgpr_workgroup_id_y 0
		.amdhsa_system_sgpr_workgroup_id_z 0
		.amdhsa_system_sgpr_workgroup_info 0
		.amdhsa_system_vgpr_workitem_id 0
		.amdhsa_next_free_vgpr 8
		.amdhsa_next_free_sgpr 8
		.amdhsa_reserve_vcc 1
		.amdhsa_float_round_mode_32 0
		.amdhsa_float_round_mode_16_64 0
		.amdhsa_float_denorm_mode_32 3
		.amdhsa_float_denorm_mode_16_64 3
		.amdhsa_dx10_clamp 1
		.amdhsa_ieee_mode 1
		.amdhsa_fp16_overflow 0
		.amdhsa_workgroup_processor_mode 1
		.amdhsa_memory_ordered 1
		.amdhsa_forward_progress 0
		.amdhsa_shared_vgpr_count 0
		.amdhsa_exception_fp_ieee_invalid_op 0
		.amdhsa_exception_fp_denorm_src 0
		.amdhsa_exception_fp_ieee_div_zero 0
		.amdhsa_exception_fp_ieee_overflow 0
		.amdhsa_exception_fp_ieee_underflow 0
		.amdhsa_exception_fp_ieee_inexact 0
		.amdhsa_exception_int_div_zero 0
	.end_amdhsa_kernel
	.section	.text._Z20warp_exchange_kernelILj4ELj16EN6common18StripedToBlockedOpEaEvPT2_S3_b,"axG",@progbits,_Z20warp_exchange_kernelILj4ELj16EN6common18StripedToBlockedOpEaEvPT2_S3_b,comdat
.Lfunc_end25:
	.size	_Z20warp_exchange_kernelILj4ELj16EN6common18StripedToBlockedOpEaEvPT2_S3_b, .Lfunc_end25-_Z20warp_exchange_kernelILj4ELj16EN6common18StripedToBlockedOpEaEvPT2_S3_b
                                        ; -- End function
	.section	.AMDGPU.csdata,"",@progbits
; Kernel info:
; codeLenInByte = 244
; NumSgprs: 10
; NumVgprs: 8
; ScratchSize: 0
; MemoryBound: 0
; FloatMode: 240
; IeeeMode: 1
; LDSByteSize: 256 bytes/workgroup (compile time only)
; SGPRBlocks: 1
; VGPRBlocks: 0
; NumSGPRsForWavesPerEU: 10
; NumVGPRsForWavesPerEU: 8
; Occupancy: 16
; WaveLimiterHint : 0
; COMPUTE_PGM_RSRC2:SCRATCH_EN: 0
; COMPUTE_PGM_RSRC2:USER_SGPR: 15
; COMPUTE_PGM_RSRC2:TRAP_HANDLER: 0
; COMPUTE_PGM_RSRC2:TGID_X_EN: 1
; COMPUTE_PGM_RSRC2:TGID_Y_EN: 0
; COMPUTE_PGM_RSRC2:TGID_Z_EN: 0
; COMPUTE_PGM_RSRC2:TIDIG_COMP_CNT: 0
	.section	.text._Z20warp_exchange_kernelILj4ELj8EN6common18StripedToBlockedOpEiEvPT2_S3_b,"axG",@progbits,_Z20warp_exchange_kernelILj4ELj8EN6common18StripedToBlockedOpEiEvPT2_S3_b,comdat
	.protected	_Z20warp_exchange_kernelILj4ELj8EN6common18StripedToBlockedOpEiEvPT2_S3_b ; -- Begin function _Z20warp_exchange_kernelILj4ELj8EN6common18StripedToBlockedOpEiEvPT2_S3_b
	.globl	_Z20warp_exchange_kernelILj4ELj8EN6common18StripedToBlockedOpEiEvPT2_S3_b
	.p2align	8
	.type	_Z20warp_exchange_kernelILj4ELj8EN6common18StripedToBlockedOpEiEvPT2_S3_b,@function
_Z20warp_exchange_kernelILj4ELj8EN6common18StripedToBlockedOpEiEvPT2_S3_b: ; @_Z20warp_exchange_kernelILj4ELj8EN6common18StripedToBlockedOpEiEvPT2_S3_b
; %bb.0:
	s_load_b128 s[4:7], s[0:1], 0x0
	v_lshlrev_b32_e32 v1, 4, v0
	s_load_b32 s0, s[0:1], 0x10
	v_mbcnt_lo_u32_b32 v6, -1, 0
	v_lshlrev_b32_e32 v5, 2, v0
	v_lshrrev_b32_e32 v7, 3, v0
	s_delay_alu instid0(VALU_DEP_3)
	v_and_b32_e32 v0, 7, v6
	s_waitcnt lgkmcnt(0)
	global_load_b128 v[1:4], v1, s[4:5]
	s_bitcmp0_b32 s0, 0
	s_mov_b32 s0, -1
	s_cbranch_scc0 .LBB26_2
; %bb.1:
	v_lshl_add_u32 v6, v7, 7, 0x200
	s_delay_alu instid0(VALU_DEP_1)
	v_lshl_or_b32 v8, v0, 2, v6
	s_waitcnt vmcnt(0)
	ds_store_2addr_b32 v8, v1, v2 offset1:8
	ds_store_2addr_b32 v8, v3, v4 offset0:16 offset1:24
	; wave barrier
	s_cbranch_execz .LBB26_3
	s_branch .LBB26_4
.LBB26_2:
                                        ; implicit-def: $vgpr6
	s_and_not1_b32 vcc_lo, exec_lo, s0
	s_cbranch_vccnz .LBB26_4
.LBB26_3:
	v_lshlrev_b32_e32 v6, 7, v7
	s_delay_alu instid0(VALU_DEP_1)
	v_lshl_or_b32 v7, v0, 2, v6
	s_waitcnt vmcnt(0)
	ds_store_2addr_b32 v7, v1, v2 offset1:8
	ds_store_2addr_b32 v7, v3, v4 offset0:16 offset1:24
	; wave barrier
.LBB26_4:
	s_waitcnt vmcnt(0)
	v_lshl_add_u32 v2, v0, 4, v6
	v_lshlrev_b32_e32 v4, 2, v5
	ds_load_2addr_b32 v[0:1], v2 offset1:1
	ds_load_2addr_b32 v[2:3], v2 offset0:2 offset1:3
	s_waitcnt lgkmcnt(0)
	global_store_b128 v4, v[0:3], s[6:7]
	s_nop 0
	s_sendmsg sendmsg(MSG_DEALLOC_VGPRS)
	s_endpgm
	.section	.rodata,"a",@progbits
	.p2align	6, 0x0
	.amdhsa_kernel _Z20warp_exchange_kernelILj4ELj8EN6common18StripedToBlockedOpEiEvPT2_S3_b
		.amdhsa_group_segment_fixed_size 1024
		.amdhsa_private_segment_fixed_size 0
		.amdhsa_kernarg_size 20
		.amdhsa_user_sgpr_count 15
		.amdhsa_user_sgpr_dispatch_ptr 0
		.amdhsa_user_sgpr_queue_ptr 0
		.amdhsa_user_sgpr_kernarg_segment_ptr 1
		.amdhsa_user_sgpr_dispatch_id 0
		.amdhsa_user_sgpr_private_segment_size 0
		.amdhsa_wavefront_size32 1
		.amdhsa_uses_dynamic_stack 0
		.amdhsa_enable_private_segment 0
		.amdhsa_system_sgpr_workgroup_id_x 1
		.amdhsa_system_sgpr_workgroup_id_y 0
		.amdhsa_system_sgpr_workgroup_id_z 0
		.amdhsa_system_sgpr_workgroup_info 0
		.amdhsa_system_vgpr_workitem_id 0
		.amdhsa_next_free_vgpr 9
		.amdhsa_next_free_sgpr 8
		.amdhsa_reserve_vcc 1
		.amdhsa_float_round_mode_32 0
		.amdhsa_float_round_mode_16_64 0
		.amdhsa_float_denorm_mode_32 3
		.amdhsa_float_denorm_mode_16_64 3
		.amdhsa_dx10_clamp 1
		.amdhsa_ieee_mode 1
		.amdhsa_fp16_overflow 0
		.amdhsa_workgroup_processor_mode 1
		.amdhsa_memory_ordered 1
		.amdhsa_forward_progress 0
		.amdhsa_shared_vgpr_count 0
		.amdhsa_exception_fp_ieee_invalid_op 0
		.amdhsa_exception_fp_denorm_src 0
		.amdhsa_exception_fp_ieee_div_zero 0
		.amdhsa_exception_fp_ieee_overflow 0
		.amdhsa_exception_fp_ieee_underflow 0
		.amdhsa_exception_fp_ieee_inexact 0
		.amdhsa_exception_int_div_zero 0
	.end_amdhsa_kernel
	.section	.text._Z20warp_exchange_kernelILj4ELj8EN6common18StripedToBlockedOpEiEvPT2_S3_b,"axG",@progbits,_Z20warp_exchange_kernelILj4ELj8EN6common18StripedToBlockedOpEiEvPT2_S3_b,comdat
.Lfunc_end26:
	.size	_Z20warp_exchange_kernelILj4ELj8EN6common18StripedToBlockedOpEiEvPT2_S3_b, .Lfunc_end26-_Z20warp_exchange_kernelILj4ELj8EN6common18StripedToBlockedOpEiEvPT2_S3_b
                                        ; -- End function
	.section	.AMDGPU.csdata,"",@progbits
; Kernel info:
; codeLenInByte = 220
; NumSgprs: 10
; NumVgprs: 9
; ScratchSize: 0
; MemoryBound: 0
; FloatMode: 240
; IeeeMode: 1
; LDSByteSize: 1024 bytes/workgroup (compile time only)
; SGPRBlocks: 1
; VGPRBlocks: 1
; NumSGPRsForWavesPerEU: 10
; NumVGPRsForWavesPerEU: 9
; Occupancy: 16
; WaveLimiterHint : 0
; COMPUTE_PGM_RSRC2:SCRATCH_EN: 0
; COMPUTE_PGM_RSRC2:USER_SGPR: 15
; COMPUTE_PGM_RSRC2:TRAP_HANDLER: 0
; COMPUTE_PGM_RSRC2:TGID_X_EN: 1
; COMPUTE_PGM_RSRC2:TGID_Y_EN: 0
; COMPUTE_PGM_RSRC2:TGID_Z_EN: 0
; COMPUTE_PGM_RSRC2:TIDIG_COMP_CNT: 0
	.section	.text._Z20warp_exchange_kernelILj2ELj16EN6common25StripedToBlockedShuffleOpEfEvPT2_S3_b,"axG",@progbits,_Z20warp_exchange_kernelILj2ELj16EN6common25StripedToBlockedShuffleOpEfEvPT2_S3_b,comdat
	.protected	_Z20warp_exchange_kernelILj2ELj16EN6common25StripedToBlockedShuffleOpEfEvPT2_S3_b ; -- Begin function _Z20warp_exchange_kernelILj2ELj16EN6common25StripedToBlockedShuffleOpEfEvPT2_S3_b
	.globl	_Z20warp_exchange_kernelILj2ELj16EN6common25StripedToBlockedShuffleOpEfEvPT2_S3_b
	.p2align	8
	.type	_Z20warp_exchange_kernelILj2ELj16EN6common25StripedToBlockedShuffleOpEfEvPT2_S3_b,@function
_Z20warp_exchange_kernelILj2ELj16EN6common25StripedToBlockedShuffleOpEfEvPT2_S3_b: ; @_Z20warp_exchange_kernelILj2ELj16EN6common25StripedToBlockedShuffleOpEfEvPT2_S3_b
; %bb.0:
	s_load_b128 s[4:7], s[0:1], 0x0
	v_lshlrev_b32_e32 v1, 3, v0
	v_mbcnt_lo_u32_b32 v3, -1, 0
	s_load_b32 s1, s[0:1], 0x10
	v_lshlrev_b32_e32 v0, 1, v0
	s_delay_alu instid0(VALU_DEP_2) | instskip(SKIP_2) | instid1(VALU_DEP_2)
	v_lshlrev_b32_e32 v4, 1, v3
	v_and_b32_e32 v5, 16, v3
	v_and_b32_e32 v3, 15, v3
	v_and_or_b32 v4, v4, 14, v5
	s_delay_alu instid0(VALU_DEP_2) | instskip(NEXT) | instid1(VALU_DEP_2)
	v_cmp_gt_u32_e64 s0, 8, v3
	v_lshlrev_b32_e32 v5, 2, v4
	s_waitcnt lgkmcnt(0)
	global_load_b64 v[1:2], v1, s[4:5]
	v_or_b32_e32 v6, 4, v5
	s_bitcmp0_b32 s1, 0
	s_mov_b32 s1, -1
	s_cbranch_scc0 .LBB27_2
; %bb.1:
	s_waitcnt vmcnt(0)
	ds_bpermute_b32 v3, v5, v1
	ds_bpermute_b32 v4, v6, v1
	;; [unrolled: 1-line block ×4, first 2 shown]
	s_waitcnt lgkmcnt(1)
	v_cndmask_b32_e64 v4, v7, v4, s0
	s_waitcnt lgkmcnt(0)
	v_cndmask_b32_e64 v3, v8, v3, s0
	s_cbranch_execz .LBB27_3
	s_branch .LBB27_4
.LBB27_2:
                                        ; implicit-def: $vgpr3_vgpr4
	s_and_not1_b32 vcc_lo, exec_lo, s1
	s_cbranch_vccnz .LBB27_4
.LBB27_3:
	s_waitcnt vmcnt(0)
	ds_bpermute_b32 v3, v5, v1
	ds_bpermute_b32 v1, v6, v1
	;; [unrolled: 1-line block ×4, first 2 shown]
	s_waitcnt lgkmcnt(1)
	v_cndmask_b32_e64 v4, v4, v1, s0
	s_waitcnt lgkmcnt(0)
	v_cndmask_b32_e64 v3, v2, v3, s0
.LBB27_4:
	v_lshlrev_b32_e32 v0, 2, v0
	global_store_b64 v0, v[3:4], s[6:7]
	s_nop 0
	s_sendmsg sendmsg(MSG_DEALLOC_VGPRS)
	s_endpgm
	.section	.rodata,"a",@progbits
	.p2align	6, 0x0
	.amdhsa_kernel _Z20warp_exchange_kernelILj2ELj16EN6common25StripedToBlockedShuffleOpEfEvPT2_S3_b
		.amdhsa_group_segment_fixed_size 0
		.amdhsa_private_segment_fixed_size 0
		.amdhsa_kernarg_size 20
		.amdhsa_user_sgpr_count 15
		.amdhsa_user_sgpr_dispatch_ptr 0
		.amdhsa_user_sgpr_queue_ptr 0
		.amdhsa_user_sgpr_kernarg_segment_ptr 1
		.amdhsa_user_sgpr_dispatch_id 0
		.amdhsa_user_sgpr_private_segment_size 0
		.amdhsa_wavefront_size32 1
		.amdhsa_uses_dynamic_stack 0
		.amdhsa_enable_private_segment 0
		.amdhsa_system_sgpr_workgroup_id_x 1
		.amdhsa_system_sgpr_workgroup_id_y 0
		.amdhsa_system_sgpr_workgroup_id_z 0
		.amdhsa_system_sgpr_workgroup_info 0
		.amdhsa_system_vgpr_workitem_id 0
		.amdhsa_next_free_vgpr 9
		.amdhsa_next_free_sgpr 8
		.amdhsa_reserve_vcc 1
		.amdhsa_float_round_mode_32 0
		.amdhsa_float_round_mode_16_64 0
		.amdhsa_float_denorm_mode_32 3
		.amdhsa_float_denorm_mode_16_64 3
		.amdhsa_dx10_clamp 1
		.amdhsa_ieee_mode 1
		.amdhsa_fp16_overflow 0
		.amdhsa_workgroup_processor_mode 1
		.amdhsa_memory_ordered 1
		.amdhsa_forward_progress 0
		.amdhsa_shared_vgpr_count 0
		.amdhsa_exception_fp_ieee_invalid_op 0
		.amdhsa_exception_fp_denorm_src 0
		.amdhsa_exception_fp_ieee_div_zero 0
		.amdhsa_exception_fp_ieee_overflow 0
		.amdhsa_exception_fp_ieee_underflow 0
		.amdhsa_exception_fp_ieee_inexact 0
		.amdhsa_exception_int_div_zero 0
	.end_amdhsa_kernel
	.section	.text._Z20warp_exchange_kernelILj2ELj16EN6common25StripedToBlockedShuffleOpEfEvPT2_S3_b,"axG",@progbits,_Z20warp_exchange_kernelILj2ELj16EN6common25StripedToBlockedShuffleOpEfEvPT2_S3_b,comdat
.Lfunc_end27:
	.size	_Z20warp_exchange_kernelILj2ELj16EN6common25StripedToBlockedShuffleOpEfEvPT2_S3_b, .Lfunc_end27-_Z20warp_exchange_kernelILj2ELj16EN6common25StripedToBlockedShuffleOpEfEvPT2_S3_b
                                        ; -- End function
	.section	.AMDGPU.csdata,"",@progbits
; Kernel info:
; codeLenInByte = 260
; NumSgprs: 10
; NumVgprs: 9
; ScratchSize: 0
; MemoryBound: 0
; FloatMode: 240
; IeeeMode: 1
; LDSByteSize: 0 bytes/workgroup (compile time only)
; SGPRBlocks: 1
; VGPRBlocks: 1
; NumSGPRsForWavesPerEU: 10
; NumVGPRsForWavesPerEU: 9
; Occupancy: 16
; WaveLimiterHint : 0
; COMPUTE_PGM_RSRC2:SCRATCH_EN: 0
; COMPUTE_PGM_RSRC2:USER_SGPR: 15
; COMPUTE_PGM_RSRC2:TRAP_HANDLER: 0
; COMPUTE_PGM_RSRC2:TGID_X_EN: 1
; COMPUTE_PGM_RSRC2:TGID_Y_EN: 0
; COMPUTE_PGM_RSRC2:TGID_Z_EN: 0
; COMPUTE_PGM_RSRC2:TIDIG_COMP_CNT: 0
	.section	.text._Z20warp_exchange_kernelILj64ELj16EN6common25BlockedToStripedShuffleOpE12hip_bfloat16EvPT2_S4_b,"axG",@progbits,_Z20warp_exchange_kernelILj64ELj16EN6common25BlockedToStripedShuffleOpE12hip_bfloat16EvPT2_S4_b,comdat
	.protected	_Z20warp_exchange_kernelILj64ELj16EN6common25BlockedToStripedShuffleOpE12hip_bfloat16EvPT2_S4_b ; -- Begin function _Z20warp_exchange_kernelILj64ELj16EN6common25BlockedToStripedShuffleOpE12hip_bfloat16EvPT2_S4_b
	.globl	_Z20warp_exchange_kernelILj64ELj16EN6common25BlockedToStripedShuffleOpE12hip_bfloat16EvPT2_S4_b
	.p2align	8
	.type	_Z20warp_exchange_kernelILj64ELj16EN6common25BlockedToStripedShuffleOpE12hip_bfloat16EvPT2_S4_b,@function
_Z20warp_exchange_kernelILj64ELj16EN6common25BlockedToStripedShuffleOpE12hip_bfloat16EvPT2_S4_b: ; @_Z20warp_exchange_kernelILj64ELj16EN6common25BlockedToStripedShuffleOpE12hip_bfloat16EvPT2_S4_b
; %bb.0:
	s_load_b128 s[4:7], s[0:1], 0x0
	v_lshlrev_b32_e32 v1, 7, v0
	s_load_b32 s0, s[0:1], 0x10
	v_lshlrev_b32_e32 v0, 6, v0
	s_waitcnt lgkmcnt(0)
	s_clause 0x7
	global_load_b128 v[25:28], v1, s[4:5]
	global_load_b128 v[29:32], v1, s[4:5] offset:16
	global_load_b128 v[17:20], v1, s[4:5] offset:32
	;; [unrolled: 1-line block ×7, first 2 shown]
	s_bitcmp0_b32 s0, 0
	s_mov_b32 s0, 0
	s_waitcnt vmcnt(7)
	v_lshrrev_b32_e32 v116, 16, v25
	v_lshrrev_b32_e32 v117, 16, v26
	v_lshrrev_b32_e32 v118, 16, v27
	v_lshrrev_b32_e32 v119, 16, v28
	v_and_b32_e32 v121, 0xffff, v26
	v_and_b32_e32 v120, 0xffff, v28
	s_waitcnt vmcnt(6)
	v_lshrrev_b32_e32 v110, 16, v29
	v_lshrrev_b32_e32 v111, 16, v30
	v_lshrrev_b32_e32 v112, 16, v31
	v_lshrrev_b32_e32 v113, 16, v32
	v_and_b32_e32 v115, 0xffff, v30
	v_and_b32_e32 v114, 0xffff, v32
	;; [unrolled: 7-line block ×8, first 2 shown]
	v_mbcnt_lo_u32_b32 v2, -1, 0
	s_cbranch_scc0 .LBB28_2
; %bb.1:
	v_mov_b32_dpp v32, v121 quad_perm:[2,3,0,1] row_mask:0xf bank_mask:0xf
	v_mov_b32_dpp v33, v120 quad_perm:[2,3,0,1] row_mask:0xf bank_mask:0xf
	;; [unrolled: 1-line block ×7, first 2 shown]
	v_perm_b32 v35, v34, v33, 0x5040100
	v_perm_b32 v33, v36, v32, 0x5040100
	;; [unrolled: 1-line block ×3, first 2 shown]
	v_mov_b32_dpp v36, v115 quad_perm:[2,3,0,1] row_mask:0xf bank_mask:0xf
	v_mov_b32_dpp v37, v114 quad_perm:[2,3,0,1] row_mask:0xf bank_mask:0xf
	;; [unrolled: 1-line block ×4, first 2 shown]
	v_perm_b32 v32, v38, v25, 0x5040100
	v_mov_b32_dpp v42, v110 quad_perm:[3,0,1,2] row_mask:0xf bank_mask:0xf
	v_perm_b32 v39, v39, v37, 0x5040100
	v_perm_b32 v37, v40, v36, 0x5040100
	;; [unrolled: 1-line block ×3, first 2 shown]
	v_mov_b32_dpp v40, v109 quad_perm:[2,3,0,1] row_mask:0xf bank_mask:0xf
	v_mov_b32_dpp v41, v108 quad_perm:[2,3,0,1] row_mask:0xf bank_mask:0xf
	;; [unrolled: 1-line block ×6, first 2 shown]
	v_perm_b32 v36, v42, v29, 0x5040100
	v_perm_b32 v43, v43, v41, 0x5040100
	;; [unrolled: 1-line block ×4, first 2 shown]
	v_mov_b32_dpp v44, v103 quad_perm:[2,3,0,1] row_mask:0xf bank_mask:0xf
	v_mov_b32_dpp v45, v102 quad_perm:[2,3,0,1] row_mask:0xf bank_mask:0xf
	;; [unrolled: 1-line block ×6, first 2 shown]
	v_perm_b32 v40, v46, v17, 0x5040100
	v_perm_b32 v47, v47, v45, 0x5040100
	;; [unrolled: 1-line block ×5, first 2 shown]
	s_clause 0x3
	scratch_store_b128 off, v[32:35], off
	scratch_store_b128 off, v[36:39], off offset:16
	scratch_store_b128 off, v[40:43], off offset:32
	;; [unrolled: 1-line block ×3, first 2 shown]
	v_and_b32_e32 v48, 3, v2
	v_mov_b32_dpp v39, v90 quad_perm:[2,3,0,1] row_mask:0xf bank_mask:0xf
	v_mov_b32_dpp v43, v89 quad_perm:[1,2,3,0] row_mask:0xf bank_mask:0xf
	;; [unrolled: 1-line block ×11, first 2 shown]
	v_lshl_or_b32 v49, v48, 1, 0
	v_perm_b32 v39, v43, v39, 0x5040100
	v_mov_b32_dpp v43, v24 quad_perm:[2,3,0,1] row_mask:0xf bank_mask:0xf
	v_mov_b32_dpp v45, v22 quad_perm:[1,2,3,0] row_mask:0xf bank_mask:0xf
	;; [unrolled: 1-line block ×5, first 2 shown]
	v_perm_b32 v35, v36, v35, 0x5040100
	v_perm_b32 v37, v38, v37, 0x5040100
	;; [unrolled: 1-line block ×6, first 2 shown]
	v_mov_b32_dpp v40, v16 quad_perm:[3,0,1,2] row_mask:0xf bank_mask:0xf
	v_mov_b32_dpp v41, v26 quad_perm:[2,3,0,1] row_mask:0xf bank_mask:0xf
	;; [unrolled: 1-line block ×8, first 2 shown]
	s_clause 0x4
	scratch_load_u16 v50, v49, off offset:24
	scratch_load_u16 v51, v49, off offset:48
	;; [unrolled: 1-line block ×5, first 2 shown]
	v_perm_b32 v43, v45, v43, 0x5040100
	scratch_load_u16 v59, v49, off offset:16
	v_perm_b32 v45, v56, v46, 0x5040100
	scratch_load_u16 v56, v49, off offset:8
	v_perm_b32 v32, v32, v13, 0x5040100
	v_perm_b32 v41, v42, v41, 0x5040100
	;; [unrolled: 1-line block ×7, first 2 shown]
	s_clause 0x3
	scratch_store_b128 off, v[36:39], off offset:80
	scratch_store_b128 off, v[32:35], off offset:64
	;; [unrolled: 1-line block ×4, first 2 shown]
	s_clause 0x8
	scratch_load_u16 v32, v49, off offset:80
	scratch_load_u16 v33, v49, off offset:88
	;; [unrolled: 1-line block ×7, first 2 shown]
	scratch_load_u16 v36, v49, off
	scratch_load_u16 v42, v49, off offset:64
	v_add_nc_u32_e32 v35, -1, v2
	v_and_b32_e32 v37, 16, v2
	v_add_nc_u32_e32 v43, 12, v2
	v_add_nc_u32_e32 v45, 4, v2
	v_lshlrev_b32_e32 v44, 2, v2
	v_and_b32_e32 v35, 3, v35
	v_xor_b32_e32 v46, 2, v48
	v_and_or_b32 v43, v43, 15, v37
	v_and_or_b32 v37, v45, 15, v37
	v_xor_b32_e32 v62, 32, v44
	v_lshl_or_b32 v35, v35, 1, 0
	v_lshl_or_b32 v44, v46, 1, 0
	v_lshlrev_b32_e32 v87, 2, v43
	v_lshlrev_b32_e32 v55, 2, v37
	v_add_nc_u32_e32 v45, 3, v46
	s_clause 0x17
	scratch_load_u16 v43, v35, off
	scratch_load_u16 v46, v35, off offset:8
	scratch_load_u16 v47, v35, off offset:16
	;; [unrolled: 1-line block ×15, first 2 shown]
	scratch_load_u16 v70, v44, off
	scratch_load_u16 v71, v44, off offset:8
	scratch_load_u16 v72, v44, off offset:16
	scratch_load_u16 v73, v44, off offset:24
	scratch_load_u16 v74, v44, off offset:32
	scratch_load_u16 v75, v44, off offset:40
	scratch_load_u16 v76, v44, off offset:48
	scratch_load_u16 v77, v44, off offset:56
	v_and_b32_e32 v83, 3, v45
	s_delay_alu instid0(VALU_DEP_1)
	v_lshl_or_b32 v83, v83, 1, 0
	s_waitcnt vmcnt(39)
	ds_bpermute_b32 v50, v55, v50
	s_waitcnt vmcnt(38)
	ds_bpermute_b32 v35, v62, v51
	;; [unrolled: 2-line block ×3, first 2 shown]
	ds_bpermute_b32 v51, v55, v52
	s_waitcnt vmcnt(34)
	ds_bpermute_b32 v37, v62, v59
	s_clause 0x7
	scratch_load_u16 v52, v44, off offset:64
	scratch_load_u16 v59, v44, off offset:72
	;; [unrolled: 1-line block ×8, first 2 shown]
	s_waitcnt vmcnt(41)
	ds_bpermute_b32 v56, v87, v56
	s_waitcnt vmcnt(40)
	ds_bpermute_b32 v84, v62, v32
	;; [unrolled: 2-line block ×3, first 2 shown]
	v_lshlrev_b32_e32 v32, 1, v45
	s_waitcnt vmcnt(37)
	ds_bpermute_b32 v39, v87, v39
	s_waitcnt vmcnt(34)
	ds_bpermute_b32 v45, v87, v34
	v_or3_b32 v86, 0, v32, 8
	v_or_b32_e32 v122, 24, v32
	v_or_b32_e32 v123, 40, v32
	;; [unrolled: 1-line block ×3, first 2 shown]
	s_clause 0x1
	scratch_load_u16 v86, v86, off
	scratch_load_u16 v122, v122, off
	s_waitcnt lgkmcnt(7)
	v_perm_b32 v34, v53, v54, 0x5040100
	s_waitcnt lgkmcnt(6)
	v_perm_b32 v35, v51, v35, 0x5040100
	v_or_b32_e32 v51, 0x58, v32
	s_waitcnt lgkmcnt(5)
	v_perm_b32 v33, v50, v37, 0x5040100
	v_or_b32_e32 v50, 0x48, v32
	v_or_b32_e32 v53, 0x68, v32
	;; [unrolled: 1-line block ×3, first 2 shown]
	s_waitcnt vmcnt(35) lgkmcnt(4)
	v_perm_b32 v32, v56, v36, 0x5040100
	s_waitcnt lgkmcnt(2)
	v_perm_b32 v37, v85, v84, 0x5040100
	scratch_load_u16 v56, v83, off
	s_waitcnt lgkmcnt(1)
	v_perm_b32 v125, v39, v38, 0x5040100
	s_waitcnt vmcnt(35) lgkmcnt(0)
	v_perm_b32 v36, v45, v42, 0x5040100
	s_clause 0x6
	scratch_load_u16 v42, v83, off offset:16
	scratch_load_u16 v45, v83, off offset:32
	;; [unrolled: 1-line block ×3, first 2 shown]
	scratch_load_u16 v85, v123, off
	scratch_load_u16 v123, v124, off
	;; [unrolled: 1-line block ×3, first 2 shown]
	scratch_load_u16 v124, v83, off offset:64
	scratch_store_b128 off, v[32:35], off offset:128
	s_clause 0x5
	scratch_load_u16 v32, v83, off offset:80
	scratch_load_u16 v33, v51, off
	scratch_load_u16 v34, v83, off offset:96
	scratch_load_u16 v35, v53, off
	;; [unrolled: 2-line block ×3, first 2 shown]
	ds_bpermute_b32 v83, v62, v40
	ds_bpermute_b32 v40, v55, v41
	s_waitcnt vmcnt(47)
	v_mov_b32_dpp v41, v43 quad_perm:[1,2,3,0] row_mask:0xf bank_mask:0xf
	s_waitcnt vmcnt(46)
	v_mov_b32_dpp v43, v46 quad_perm:[1,2,3,0] row_mask:0xf bank_mask:0xf
	;; [unrolled: 2-line block ×24, first 2 shown]
	v_and_b32_e32 v43, 0xffff, v43
	v_and_b32_e32 v46, 0xffff, v46
	;; [unrolled: 1-line block ×18, first 2 shown]
	ds_bpermute_b32 v43, v87, v43
	ds_bpermute_b32 v46, v62, v46
	ds_bpermute_b32 v47, v55, v47
	v_lshrrev_b32_e32 v54, 2, v2
	ds_bpermute_b32 v49, v87, v49
	scratch_store_b64 off, v[36:37], off offset:144
	v_add_nc_u32_e32 v54, -1, v54
	s_delay_alu instid0(VALU_DEP_1) | instskip(NEXT) | instid1(VALU_DEP_1)
	v_and_b32_e32 v54, 3, v54
	v_lshl_or_b32 v54, v54, 1, 0x80
	s_waitcnt vmcnt(23)
	v_mov_b32_dpp v52, v52 quad_perm:[2,3,0,1] row_mask:0xf bank_mask:0xf
	s_waitcnt vmcnt(22)
	v_mov_b32_dpp v59, v59 quad_perm:[2,3,0,1] row_mask:0xf bank_mask:0xf
	;; [unrolled: 2-line block ×8, first 2 shown]
	v_and_b32_e32 v59, 0xffff, v59
	v_and_b32_e32 v77, 0xffff, v77
	;; [unrolled: 1-line block ×6, first 2 shown]
	ds_bpermute_b32 v59, v87, v59
	s_waitcnt vmcnt(15)
	v_mov_b32_dpp v82, v86 quad_perm:[3,0,1,2] row_mask:0xf bank_mask:0xf
	s_waitcnt vmcnt(14)
	v_mov_b32_dpp v86, v122 quad_perm:[3,0,1,2] row_mask:0xf bank_mask:0xf
	;; [unrolled: 2-line block ×15, first 2 shown]
	ds_bpermute_b32 v53, v62, v57
	ds_bpermute_b32 v57, v55, v58
	;; [unrolled: 1-line block ×19, first 2 shown]
	v_and_b32_e32 v44, 0xffff, v82
	v_and_b32_e32 v42, 0xffff, v42
	;; [unrolled: 1-line block ×11, first 2 shown]
	ds_bpermute_b32 v126, v87, v44
	ds_bpermute_b32 v127, v62, v42
	;; [unrolled: 1-line block ×11, first 2 shown]
	v_and_b32_e32 v51, 0xffff, v51
	v_mov_b32_dpp v56, v56 quad_perm:[3,0,1,2] row_mask:0xf bank_mask:0xf
	s_waitcnt lgkmcnt(33)
	v_perm_b32 v33, v46, v43, 0x5040100
	s_waitcnt lgkmcnt(32)
	v_perm_b32 v34, v48, v47, 0x5040100
	s_waitcnt lgkmcnt(12)
	v_perm_b32 v47, v80, v78, 0x5040100
	ds_bpermute_b32 v133, v55, v51
	v_perm_b32 v45, v76, v59, 0x5040100
	v_perm_b32 v46, v79, v77, 0x5040100
	;; [unrolled: 1-line block ×13, first 2 shown]
	s_clause 0x4
	scratch_store_b32 off, v125, off offset:152
	scratch_store_b16 off, v83, off offset:156
	scratch_store_b128 off, v[32:35], off offset:158
	scratch_store_b128 off, v[36:39], off offset:174
	;; [unrolled: 1-line block ×3, first 2 shown]
	s_waitcnt lgkmcnt(12)
	v_perm_b32 v48, v56, v81, 0x5040100
	s_clause 0x7
	scratch_load_u16 v40, v54, off
	scratch_load_u16 v41, v54, off offset:8
	scratch_load_u16 v42, v54, off offset:16
	;; [unrolled: 1-line block ×7, first 2 shown]
	scratch_store_b128 off, v[44:47], off offset:206
	v_bfe_u32 v44, v2, 2, 2
	s_waitcnt lgkmcnt(7)
	v_perm_b32 v51, v84, v128, 0x5040100
	v_perm_b32 v49, v127, v126, 0x5040100
	;; [unrolled: 1-line block ×3, first 2 shown]
	s_waitcnt lgkmcnt(1)
	v_perm_b32 v35, v132, v131, 0x5040100
	v_perm_b32 v33, v86, v129, 0x5040100
	;; [unrolled: 1-line block ×4, first 2 shown]
	v_lshl_or_b32 v63, v44, 1, 0x80
	s_clause 0x2
	scratch_load_u16 v46, v54, off offset:64
	scratch_load_u16 v47, v54, off offset:72
	;; [unrolled: 1-line block ×3, first 2 shown]
	scratch_store_b128 off, v[48:51], off offset:222
	s_clause 0x1
	scratch_load_u16 v50, v54, off offset:88
	scratch_load_u16 v51, v54, off offset:96
	scratch_store_b128 off, v[32:35], off offset:238
	s_clause 0x1
	scratch_load_u16 v59, v54, off offset:104
	scratch_load_u16 v60, v54, off offset:112
	s_waitcnt lgkmcnt(0)
	scratch_store_b16 off, v133, off offset:254
	s_clause 0x8
	scratch_load_u16 v61, v54, off offset:120
	scratch_load_u16 v32, v63, off
	scratch_load_u16 v33, v63, off offset:16
	scratch_load_u16 v34, v63, off offset:32
	;; [unrolled: 1-line block ×7, first 2 shown]
	v_xor_b32_e32 v44, 2, v44
	s_delay_alu instid0(VALU_DEP_1) | instskip(SKIP_1) | instid1(VALU_DEP_2)
	v_add_nc_u32_e32 v45, 3, v44
	v_lshl_or_b32 v44, v44, 1, 0x80
	v_and_b32_e32 v48, 3, v45
	v_lshlrev_b32_e32 v45, 1, v45
	s_delay_alu instid0(VALU_DEP_2) | instskip(NEXT) | instid1(VALU_DEP_2)
	v_lshl_or_b32 v64, v48, 1, 0x80
	v_or_b32_e32 v65, 56, v45
	v_or3_b32 v48, 0x80, v45, 8
	v_or_b32_e32 v49, 24, v45
	v_or_b32_e32 v54, 40, v45
	;; [unrolled: 1-line block ×3, first 2 shown]
	s_clause 0x19
	scratch_load_u16 v70, v44, off
	scratch_load_u16 v71, v44, off offset:8
	scratch_load_u16 v72, v44, off offset:16
	;; [unrolled: 1-line block ×7, first 2 shown]
	scratch_load_u16 v78, v48, off
	scratch_load_u16 v79, v49, off offset:128
	scratch_load_u16 v82, v54, off offset:128
	;; [unrolled: 1-line block ×12, first 2 shown]
	scratch_load_u16 v125, v64, off
	scratch_load_u16 v126, v64, off offset:16
	scratch_load_u16 v127, v64, off offset:32
	;; [unrolled: 1-line block ×4, first 2 shown]
	v_or_b32_e32 v67, 0x58, v45
	v_or_b32_e32 v68, 0x68, v45
	;; [unrolled: 1-line block ×3, first 2 shown]
	s_clause 0xd
	scratch_load_u16 v130, v64, off offset:80
	scratch_load_u16 v131, v67, off offset:128
	;; [unrolled: 1-line block ×6, first 2 shown]
	scratch_load_d16_hi_b16 v32, v63, off offset:8
	scratch_load_d16_hi_b16 v33, v63, off offset:24
	;; [unrolled: 1-line block ×8, first 2 shown]
	s_waitcnt vmcnt(62)
	ds_bpermute_b32 v40, v55, v40
	ds_bpermute_b32 v41, v55, v41
	s_waitcnt vmcnt(61)
	ds_bpermute_b32 v44, v55, v42
	s_waitcnt vmcnt(60)
	;; [unrolled: 2-line block ×31, first 2 shown]
	ds_bpermute_b32 v62, v87, v125
	ds_bpermute_b32 v63, v87, v78
	s_waitcnt vmcnt(17)
	ds_bpermute_b32 v70, v87, v126
	ds_bpermute_b32 v71, v87, v79
	s_waitcnt vmcnt(16)
	;; [unrolled: 3-line block ×5, first 2 shown]
	ds_bpermute_b32 v76, v87, v130
	s_waitcnt vmcnt(12)
	ds_bpermute_b32 v77, v87, v131
	s_waitcnt vmcnt(11)
	;; [unrolled: 2-line block ×5, first 2 shown]
	ds_bpermute_b32 v87, v87, v135
	s_and_not1_b32 vcc_lo, exec_lo, s0
	s_cbranch_vccz .LBB28_3
	s_branch .LBB28_4
.LBB28_2:
                                        ; implicit-def: $vgpr39
                                        ; implicit-def: $vgpr35
                                        ; implicit-def: $vgpr86_vgpr87
                                        ; implicit-def: $vgpr82_vgpr83
                                        ; implicit-def: $vgpr76_vgpr77
                                        ; implicit-def: $vgpr68_vgpr69
                                        ; implicit-def: $vgpr84_vgpr85
                                        ; implicit-def: $vgpr78_vgpr79
                                        ; implicit-def: $vgpr70_vgpr71
                                        ; implicit-def: $vgpr62_vgpr63
                                        ; implicit-def: $vgpr80_vgpr81
                                        ; implicit-def: $vgpr72_vgpr73
                                        ; implicit-def: $vgpr64_vgpr65
                                        ; implicit-def: $vgpr58_vgpr59
                                        ; implicit-def: $vgpr74_vgpr75
                                        ; implicit-def: $vgpr66_vgpr67
                                        ; implicit-def: $vgpr60_vgpr61
                                        ; implicit-def: $vgpr56_vgpr57
                                        ; implicit-def: $vgpr54_vgpr55
                                        ; implicit-def: $vgpr50_vgpr51
                                        ; implicit-def: $vgpr46_vgpr47
                                        ; implicit-def: $vgpr42_vgpr43
                                        ; implicit-def: $vgpr52_vgpr53
                                        ; implicit-def: $vgpr48_vgpr49
                                        ; implicit-def: $vgpr44_vgpr45
                                        ; implicit-def: $vgpr40_vgpr41
.LBB28_3:
	s_waitcnt vmcnt(7)
	v_mov_b32_dpp v32, v121 quad_perm:[2,3,0,1] row_mask:0xf bank_mask:0xf
	s_waitcnt vmcnt(6)
	v_mov_b32_dpp v33, v120 quad_perm:[2,3,0,1] row_mask:0xf bank_mask:0xf
	;; [unrolled: 2-line block ×6, first 2 shown]
	s_waitcnt lgkmcnt(47)
	v_mov_b32_dpp v40, v111 quad_perm:[1,2,3,0] row_mask:0xf bank_mask:0xf
	v_perm_b32 v35, v34, v33, 0x5040100
	v_perm_b32 v33, v36, v32, 0x5040100
	v_perm_b32 v34, v37, v27, 0x5040100
	v_mov_b32_dpp v27, v115 quad_perm:[2,3,0,1] row_mask:0xf bank_mask:0xf
	v_mov_b32_dpp v36, v114 quad_perm:[2,3,0,1] row_mask:0xf bank_mask:0xf
	;; [unrolled: 1-line block ×3, first 2 shown]
	s_waitcnt lgkmcnt(46)
	v_mov_b32_dpp v41, v112 quad_perm:[3,0,1,2] row_mask:0xf bank_mask:0xf
	s_waitcnt lgkmcnt(39)
	v_mov_b32_dpp v42, v110 quad_perm:[3,0,1,2] row_mask:0xf bank_mask:0xf
	v_perm_b32 v32, v38, v25, 0x5040100
	v_mov_b32_dpp v25, v109 quad_perm:[2,3,0,1] row_mask:0xf bank_mask:0xf
	s_waitcnt vmcnt(0)
	v_perm_b32 v39, v37, v36, 0x5040100
	v_perm_b32 v37, v40, v27, 0x5040100
	;; [unrolled: 1-line block ×4, first 2 shown]
	v_mov_b32_dpp v27, v107 quad_perm:[1,2,3,0] row_mask:0xf bank_mask:0xf
	v_mov_b32_dpp v29, v108 quad_perm:[2,3,0,1] row_mask:0xf bank_mask:0xf
	;; [unrolled: 1-line block ×4, first 2 shown]
	s_clause 0x1
	scratch_store_b128 off, v[32:35], off
	scratch_store_b128 off, v[36:39], off offset:16
	v_mov_b32_dpp v35, v104 quad_perm:[3,0,1,2] row_mask:0xf bank_mask:0xf
	v_perm_b32 v32, v27, v25, 0x5040100
	v_perm_b32 v34, v31, v29, 0x5040100
	;; [unrolled: 1-line block ×3, first 2 shown]
	v_mov_b32_dpp v19, v103 quad_perm:[2,3,0,1] row_mask:0xf bank_mask:0xf
	v_mov_b32_dpp v25, v102 quad_perm:[2,3,0,1] row_mask:0xf bank_mask:0xf
	;; [unrolled: 1-line block ×6, first 2 shown]
	v_perm_b32 v31, v35, v17, 0x5040100
	v_perm_b32 v38, v27, v25, 0x5040100
	;; [unrolled: 1-line block ×5, first 2 shown]
	v_mov_b32_dpp v17, v97 quad_perm:[2,3,0,1] row_mask:0xf bank_mask:0xf
	v_mov_b32_dpp v19, v95 quad_perm:[1,2,3,0] row_mask:0xf bank_mask:0xf
	;; [unrolled: 1-line block ×5, first 2 shown]
	s_clause 0x1
	scratch_store_b128 off, v[31:34], off offset:32
	scratch_store_b128 off, v[35:38], off offset:48
	v_mov_b32_dpp v27, v92 quad_perm:[3,0,1,2] row_mask:0xf bank_mask:0xf
	v_perm_b32 v31, v19, v17, 0x5040100
	v_perm_b32 v33, v23, v21, 0x5040100
	;; [unrolled: 1-line block ×3, first 2 shown]
	v_mov_b32_dpp v15, v91 quad_perm:[2,3,0,1] row_mask:0xf bank_mask:0xf
	v_mov_b32_dpp v17, v90 quad_perm:[2,3,0,1] row_mask:0xf bank_mask:0xf
	;; [unrolled: 1-line block ×5, first 2 shown]
	v_perm_b32 v30, v27, v13, 0x5040100
	v_mov_b32_dpp v13, v28 quad_perm:[3,0,1,2] row_mask:0xf bank_mask:0xf
	v_perm_b32 v29, v19, v17, 0x5040100
	v_perm_b32 v27, v21, v15, 0x5040100
	;; [unrolled: 1-line block ×3, first 2 shown]
	v_mov_b32_dpp v7, v26 quad_perm:[2,3,0,1] row_mask:0xf bank_mask:0xf
	v_mov_b32_dpp v15, v24 quad_perm:[2,3,0,1] row_mask:0xf bank_mask:0xf
	;; [unrolled: 1-line block ×6, first 2 shown]
	v_perm_b32 v26, v13, v5, 0x5040100
	v_perm_b32 v18, v17, v15, 0x5040100
	;; [unrolled: 1-line block ×5, first 2 shown]
	v_mov_b32_dpp v5, v14 quad_perm:[2,3,0,1] row_mask:0xf bank_mask:0xf
	v_mov_b32_dpp v4, v4 quad_perm:[2,3,0,1] row_mask:0xf bank_mask:0xf
	;; [unrolled: 1-line block ×6, first 2 shown]
	v_and_b32_e32 v11, 3, v2
	v_perm_b32 v6, v7, v4, 0x5040100
	v_perm_b32 v4, v8, v5, 0x5040100
	;; [unrolled: 1-line block ×4, first 2 shown]
	v_lshl_or_b32 v1, v11, 1, 0
	v_xor_b32_e32 v11, 2, v11
	v_add_nc_u32_e32 v7, -1, v2
	s_clause 0x3
	scratch_store_b128 off, v[30:33], off offset:64
	scratch_store_b128 off, v[26:29], off offset:80
	;; [unrolled: 1-line block ×4, first 2 shown]
	s_clause 0x2
	scratch_load_u16 v3, v1, off offset:8
	scratch_load_u16 v4, v1, off offset:16
	;; [unrolled: 1-line block ×3, first 2 shown]
	v_lshl_or_b32 v25, v11, 1, 0
	v_add_nc_u32_e32 v11, 3, v11
	v_and_b32_e32 v6, 3, v7
	s_clause 0x8
	scratch_load_u16 v7, v1, off offset:40
	scratch_load_u16 v8, v1, off offset:48
	;; [unrolled: 1-line block ×9, first 2 shown]
	s_waitcnt lgkmcnt(27)
	v_and_b32_e32 v66, 16, v2
	v_lshlrev_b32_e32 v48, 1, v11
	v_and_b32_e32 v11, 3, v11
	v_lshl_or_b32 v6, v6, 1, 0
	s_clause 0x7
	scratch_load_u16 v17, v6, off
	scratch_load_u16 v18, v6, off offset:8
	scratch_load_u16 v19, v6, off offset:16
	;; [unrolled: 1-line block ×7, first 2 shown]
	v_or3_b32 v49, 0, v48, 8
	v_lshl_or_b32 v11, v11, 1, 0
	v_or_b32_e32 v50, 24, v48
	v_or_b32_e32 v52, 56, v48
	;; [unrolled: 1-line block ×4, first 2 shown]
	s_clause 0x1d
	scratch_load_u16 v26, v6, off offset:64
	scratch_load_u16 v27, v6, off offset:72
	;; [unrolled: 1-line block ×8, first 2 shown]
	scratch_load_u16 v33, v25, off
	scratch_load_u16 v34, v25, off offset:8
	scratch_load_u16 v35, v25, off offset:16
	;; [unrolled: 1-line block ×15, first 2 shown]
	scratch_load_u16 v49, v49, off
	scratch_load_u16 v50, v50, off
	;; [unrolled: 1-line block ×3, first 2 shown]
	scratch_load_u16 v55, v11, off offset:16
	scratch_load_u16 v56, v11, off offset:32
	;; [unrolled: 1-line block ×3, first 2 shown]
	s_waitcnt lgkmcnt(23)
	scratch_load_u16 v58, v11, off offset:64
	s_waitcnt lgkmcnt(22)
	s_clause 0x1
	scratch_load_u16 v59, v11, off offset:80
	scratch_load_u16 v51, v51, off
	v_or_b32_e32 v60, 0x58, v48
	s_clause 0x1
	scratch_load_u16 v52, v52, off
	scratch_load_u16 v53, v53, off
	v_or_b32_e32 v61, 0x68, v48
	v_or_b32_e32 v48, 0x78, v48
	scratch_load_u16 v60, v60, off
	s_waitcnt lgkmcnt(15)
	s_clause 0x3
	scratch_load_u16 v62, v11, off offset:96
	scratch_load_u16 v61, v61, off
	scratch_load_u16 v11, v11, off offset:112
	scratch_load_u16 v48, v48, off
	s_waitcnt lgkmcnt(14)
	s_clause 0x3
	scratch_load_u16 v63, v1, off offset:32
	scratch_load_u16 v64, v1, off
	scratch_load_u16 v65, v1, off offset:64
	scratch_load_u16 v1, v1, off offset:96
	v_add_nc_u32_e32 v67, 12, v2
	s_waitcnt lgkmcnt(7)
	v_add_nc_u32_e32 v68, 4, v2
	s_waitcnt lgkmcnt(6)
	v_lshlrev_b32_e32 v69, 2, v2
	v_and_or_b32 v67, v67, 15, v66
	s_delay_alu instid0(VALU_DEP_3) | instskip(NEXT) | instid1(VALU_DEP_3)
	v_and_or_b32 v66, v68, 15, v66
	v_xor_b32_e32 v69, 32, v69
	v_bfe_u32 v68, v2, 2, 2
	s_waitcnt lgkmcnt(0)
	v_lshlrev_b32_e32 v87, 2, v67
	v_lshlrev_b32_e32 v66, 2, v66
	s_delay_alu instid0(VALU_DEP_3)
	v_lshl_or_b32 v67, v68, 1, 0x80
	s_waitcnt vmcnt(62)
	ds_bpermute_b32 v3, v87, v3
	ds_bpermute_b32 v4, v69, v4
	s_waitcnt vmcnt(61)
	ds_bpermute_b32 v5, v66, v5
	s_waitcnt vmcnt(60)
	;; [unrolled: 2-line block ×7, first 2 shown]
	v_mov_b32_dpp v6, v6 quad_perm:[1,2,3,0] row_mask:0xf bank_mask:0xf
	v_mov_b32_dpp v16, v17 quad_perm:[1,2,3,0] row_mask:0xf bank_mask:0xf
	;; [unrolled: 1-line block ×16, first 2 shown]
	s_waitcnt vmcnt(35)
	v_mov_b32_dpp v32, v33 quad_perm:[2,3,0,1] row_mask:0xf bank_mask:0xf
	s_waitcnt vmcnt(34)
	v_mov_b32_dpp v33, v34 quad_perm:[2,3,0,1] row_mask:0xf bank_mask:0xf
	;; [unrolled: 2-line block ×17, first 2 shown]
	v_mov_b32_dpp v49, v49 quad_perm:[3,0,1,2] row_mask:0xf bank_mask:0xf
	s_waitcnt vmcnt(16)
	v_mov_b32_dpp v54, v55 quad_perm:[3,0,1,2] row_mask:0xf bank_mask:0xf
	v_mov_b32_dpp v50, v50 quad_perm:[3,0,1,2] row_mask:0xf bank_mask:0xf
	s_waitcnt vmcnt(15)
	v_mov_b32_dpp v55, v56 quad_perm:[3,0,1,2] row_mask:0xf bank_mask:0xf
	s_waitcnt vmcnt(11)
	v_mov_b32_dpp v51, v51 quad_perm:[3,0,1,2] row_mask:0xf bank_mask:0xf
	v_mov_b32_dpp v56, v57 quad_perm:[3,0,1,2] row_mask:0xf bank_mask:0xf
	s_waitcnt vmcnt(10)
	v_mov_b32_dpp v52, v52 quad_perm:[3,0,1,2] row_mask:0xf bank_mask:0xf
	v_mov_b32_dpp v57, v58 quad_perm:[3,0,1,2] row_mask:0xf bank_mask:0xf
	s_waitcnt vmcnt(9)
	v_mov_b32_dpp v53, v53 quad_perm:[3,0,1,2] row_mask:0xf bank_mask:0xf
	v_mov_b32_dpp v58, v59 quad_perm:[3,0,1,2] row_mask:0xf bank_mask:0xf
	s_waitcnt vmcnt(8)
	v_mov_b32_dpp v59, v60 quad_perm:[3,0,1,2] row_mask:0xf bank_mask:0xf
	s_waitcnt vmcnt(6)
	v_mov_b32_dpp v61, v61 quad_perm:[3,0,1,2] row_mask:0xf bank_mask:0xf
	s_waitcnt vmcnt(5)
	v_mov_b32_dpp v11, v11 quad_perm:[3,0,1,2] row_mask:0xf bank_mask:0xf
	v_and_b32_e32 v17, 0xffff, v17
	v_and_b32_e32 v18, 0xffff, v18
	v_and_b32_e32 v19, 0xffff, v19
	v_and_b32_e32 v21, 0xffff, v21
	v_and_b32_e32 v22, 0xffff, v22
	v_and_b32_e32 v23, 0xffff, v23
	v_and_b32_e32 v26, 0xffff, v26
	v_and_b32_e32 v27, 0xffff, v27
	v_and_b32_e32 v28, 0xffff, v28
	v_and_b32_e32 v30, 0xffff, v30
	v_and_b32_e32 v31, 0xffff, v31
	ds_bpermute_b32 v10, v87, v10
	ds_bpermute_b32 v12, v69, v12
	;; [unrolled: 1-line block ×3, first 2 shown]
	v_and_b32_e32 v6, 0xffff, v6
	v_and_b32_e32 v33, 0xffff, v33
	;; [unrolled: 1-line block ×6, first 2 shown]
	ds_bpermute_b32 v14, v87, v14
	v_and_b32_e32 v39, 0xffff, v39
	v_and_b32_e32 v41, 0xffff, v41
	;; [unrolled: 1-line block ×18, first 2 shown]
	ds_bpermute_b32 v17, v87, v17
	ds_bpermute_b32 v18, v69, v18
	;; [unrolled: 1-line block ×11, first 2 shown]
	v_mov_b32_dpp v60, v62 quad_perm:[3,0,1,2] row_mask:0xf bank_mask:0xf
	ds_bpermute_b32 v62, v66, v6
	ds_bpermute_b32 v33, v87, v33
	;; [unrolled: 1-line block ×18, first 2 shown]
	s_waitcnt lgkmcnt(38)
	v_perm_b32 v4, v5, v4, 0x5040100
	s_waitcnt vmcnt(3) lgkmcnt(37)
	v_perm_b32 v5, v7, v63, 0x5040100
	ds_bpermute_b32 v52, v66, v52
	ds_bpermute_b32 v53, v87, v53
	;; [unrolled: 1-line block ×6, first 2 shown]
	s_waitcnt lgkmcnt(41)
	v_perm_b32 v6, v9, v8, 0x5040100
	s_waitcnt vmcnt(2)
	v_perm_b32 v3, v3, v64, 0x5040100
	s_waitcnt lgkmcnt(36)
	v_perm_b32 v9, v13, v12, 0x5040100
	s_waitcnt vmcnt(1)
	v_perm_b32 v8, v10, v65, 0x5040100
	s_waitcnt vmcnt(0) lgkmcnt(35)
	v_perm_b32 v1, v14, v1, 0x5040100
	v_perm_b32 v7, v16, v15, 0x5040100
	s_clause 0x2
	scratch_store_b128 off, v[3:6], off offset:128
	scratch_store_b64 off, v[8:9], off offset:144
	scratch_store_b32 off, v1, off offset:152
	s_waitcnt lgkmcnt(30)
	v_perm_b32 v10, v22, v21, 0x5040100
	v_perm_b32 v8, v18, v17, 0x5040100
	v_perm_b32 v9, v20, v19, 0x5040100
	s_waitcnt lgkmcnt(24)
	v_perm_b32 v6, v31, v30, 0x5040100
	v_perm_b32 v4, v27, v26, 0x5040100
	v_perm_b32 v5, v29, v28, 0x5040100
	v_perm_b32 v3, v24, v23, 0x5040100
	s_waitcnt lgkmcnt(18)
	v_perm_b32 v14, v38, v37, 0x5040100
	;; [unrolled: 5-line block ×4, first 2 shown]
	s_waitcnt lgkmcnt(6)
	v_perm_b32 v22, v56, v51, 0x5040100
	v_perm_b32 v20, v54, v49, 0x5040100
	;; [unrolled: 1-line block ×3, first 2 shown]
	s_clause 0x1
	scratch_store_b16 off, v70, off offset:156
	scratch_store_b128 off, v[7:10], off offset:158
	s_waitcnt lgkmcnt(0)
	v_perm_b32 v10, v63, v61, 0x5040100
	v_perm_b32 v8, v58, v53, 0x5040100
	;; [unrolled: 1-line block ×4, first 2 shown]
	s_clause 0x4
	scratch_store_b128 off, v[3:6], off offset:174
	scratch_store_b128 off, v[11:14], off offset:190
	scratch_store_b128 off, v[15:18], off offset:206
	scratch_store_b128 off, v[19:22], off offset:222
	scratch_store_b128 off, v[7:10], off offset:238
	s_clause 0x7
	scratch_load_u16 v32, v67, off
	scratch_load_u16 v33, v67, off offset:16
	scratch_load_u16 v34, v67, off offset:32
	;; [unrolled: 1-line block ×7, first 2 shown]
	v_mov_b32_dpp v48, v48 quad_perm:[3,0,1,2] row_mask:0xf bank_mask:0xf
	v_lshrrev_b32_e32 v1, 2, v2
	v_xor_b32_e32 v2, 2, v68
	s_delay_alu instid0(VALU_DEP_3) | instskip(NEXT) | instid1(VALU_DEP_3)
	v_and_b32_e32 v48, 0xffff, v48
	v_add_nc_u32_e32 v1, -1, v1
	s_delay_alu instid0(VALU_DEP_3)
	v_add_nc_u32_e32 v3, 3, v2
	v_lshl_or_b32 v2, v2, 1, 0x80
	ds_bpermute_b32 v48, v66, v48
	v_and_b32_e32 v1, 3, v1
	v_and_b32_e32 v4, 3, v3
	v_lshlrev_b32_e32 v3, 1, v3
	s_delay_alu instid0(VALU_DEP_3)
	v_lshl_or_b32 v1, v1, 1, 0x80
	s_clause 0x7
	scratch_load_u16 v12, v1, off
	scratch_load_u16 v13, v1, off offset:8
	scratch_load_u16 v14, v1, off offset:16
	scratch_load_u16 v15, v1, off offset:24
	scratch_load_u16 v16, v1, off offset:32
	scratch_load_u16 v17, v1, off offset:40
	scratch_load_u16 v18, v1, off offset:48
	scratch_load_u16 v19, v1, off offset:56
	v_lshl_or_b32 v4, v4, 1, 0x80
	v_or3_b32 v5, 0x80, v3, 8
	v_or_b32_e32 v6, 24, v3
	v_or_b32_e32 v7, 40, v3
	;; [unrolled: 1-line block ×7, first 2 shown]
	s_waitcnt lgkmcnt(0)
	scratch_store_b16 off, v48, off offset:254
	s_clause 0x1f
	scratch_load_u16 v20, v1, off offset:64
	scratch_load_u16 v21, v1, off offset:72
	;; [unrolled: 1-line block ×8, first 2 shown]
	scratch_load_u16 v27, v2, off
	scratch_load_u16 v28, v2, off offset:8
	scratch_load_u16 v29, v2, off offset:16
	;; [unrolled: 1-line block ×15, first 2 shown]
	scratch_load_u16 v77, v4, off
	scratch_load_u16 v5, v5, off
	scratch_load_u16 v78, v4, off offset:16
	scratch_load_u16 v6, v6, off offset:128
	scratch_load_u16 v79, v4, off offset:32
	scratch_load_u16 v7, v7, off offset:128
	scratch_load_u16 v82, v4, off offset:48
	scratch_load_u16 v8, v8, off offset:128
	s_clause 0xf
	scratch_load_u16 v83, v4, off offset:64
	scratch_load_u16 v9, v9, off offset:128
	;; [unrolled: 1-line block ×8, first 2 shown]
	scratch_load_d16_hi_b16 v32, v67, off offset:8
	scratch_load_d16_hi_b16 v33, v67, off offset:24
	;; [unrolled: 1-line block ×8, first 2 shown]
	s_waitcnt vmcnt(55)
	ds_bpermute_b32 v40, v66, v12
	s_waitcnt vmcnt(54)
	ds_bpermute_b32 v41, v66, v13
	;; [unrolled: 2-line block ×48, first 2 shown]
.LBB28_4:
	v_lshlrev_b32_e32 v24, 1, v0
	s_waitcnt lgkmcnt(40)
	v_perm_b32 v3, v53, v52, 0x5040100
	v_perm_b32 v2, v49, v48, 0x5040100
	v_perm_b32 v1, v45, v44, 0x5040100
	v_perm_b32 v0, v41, v40, 0x5040100
	s_waitcnt lgkmcnt(32)
	v_perm_b32 v7, v55, v54, 0x5040100
	v_perm_b32 v6, v51, v50, 0x5040100
	v_perm_b32 v5, v47, v46, 0x5040100
	v_perm_b32 v4, v43, v42, 0x5040100
	;; [unrolled: 5-line block ×5, first 2 shown]
	s_waitcnt vmcnt(4)
	global_store_b128 v24, v[32:35], s[6:7]
	s_waitcnt vmcnt(0)
	global_store_b128 v24, v[36:39], s[6:7] offset:16
	s_waitcnt lgkmcnt(0)
	v_perm_b32 v23, v87, v86, 0x5040100
	v_perm_b32 v22, v83, v82, 0x5040100
	;; [unrolled: 1-line block ×4, first 2 shown]
	s_clause 0x5
	global_store_b128 v24, v[0:3], s[6:7] offset:32
	global_store_b128 v24, v[4:7], s[6:7] offset:48
	;; [unrolled: 1-line block ×6, first 2 shown]
	s_endpgm
	.section	.rodata,"a",@progbits
	.p2align	6, 0x0
	.amdhsa_kernel _Z20warp_exchange_kernelILj64ELj16EN6common25BlockedToStripedShuffleOpE12hip_bfloat16EvPT2_S4_b
		.amdhsa_group_segment_fixed_size 0
		.amdhsa_private_segment_fixed_size 272
		.amdhsa_kernarg_size 20
		.amdhsa_user_sgpr_count 15
		.amdhsa_user_sgpr_dispatch_ptr 0
		.amdhsa_user_sgpr_queue_ptr 0
		.amdhsa_user_sgpr_kernarg_segment_ptr 1
		.amdhsa_user_sgpr_dispatch_id 0
		.amdhsa_user_sgpr_private_segment_size 0
		.amdhsa_wavefront_size32 1
		.amdhsa_uses_dynamic_stack 0
		.amdhsa_enable_private_segment 1
		.amdhsa_system_sgpr_workgroup_id_x 1
		.amdhsa_system_sgpr_workgroup_id_y 0
		.amdhsa_system_sgpr_workgroup_id_z 0
		.amdhsa_system_sgpr_workgroup_info 0
		.amdhsa_system_vgpr_workitem_id 0
		.amdhsa_next_free_vgpr 136
		.amdhsa_next_free_sgpr 8
		.amdhsa_reserve_vcc 1
		.amdhsa_float_round_mode_32 0
		.amdhsa_float_round_mode_16_64 0
		.amdhsa_float_denorm_mode_32 3
		.amdhsa_float_denorm_mode_16_64 3
		.amdhsa_dx10_clamp 1
		.amdhsa_ieee_mode 1
		.amdhsa_fp16_overflow 0
		.amdhsa_workgroup_processor_mode 1
		.amdhsa_memory_ordered 1
		.amdhsa_forward_progress 0
		.amdhsa_shared_vgpr_count 0
		.amdhsa_exception_fp_ieee_invalid_op 0
		.amdhsa_exception_fp_denorm_src 0
		.amdhsa_exception_fp_ieee_div_zero 0
		.amdhsa_exception_fp_ieee_overflow 0
		.amdhsa_exception_fp_ieee_underflow 0
		.amdhsa_exception_fp_ieee_inexact 0
		.amdhsa_exception_int_div_zero 0
	.end_amdhsa_kernel
	.section	.text._Z20warp_exchange_kernelILj64ELj16EN6common25BlockedToStripedShuffleOpE12hip_bfloat16EvPT2_S4_b,"axG",@progbits,_Z20warp_exchange_kernelILj64ELj16EN6common25BlockedToStripedShuffleOpE12hip_bfloat16EvPT2_S4_b,comdat
.Lfunc_end28:
	.size	_Z20warp_exchange_kernelILj64ELj16EN6common25BlockedToStripedShuffleOpE12hip_bfloat16EvPT2_S4_b, .Lfunc_end28-_Z20warp_exchange_kernelILj64ELj16EN6common25BlockedToStripedShuffleOpE12hip_bfloat16EvPT2_S4_b
                                        ; -- End function
	.section	.AMDGPU.csdata,"",@progbits
; Kernel info:
; codeLenInByte = 9996
; NumSgprs: 10
; NumVgprs: 136
; ScratchSize: 272
; MemoryBound: 0
; FloatMode: 240
; IeeeMode: 1
; LDSByteSize: 0 bytes/workgroup (compile time only)
; SGPRBlocks: 1
; VGPRBlocks: 16
; NumSGPRsForWavesPerEU: 10
; NumVGPRsForWavesPerEU: 136
; Occupancy: 10
; WaveLimiterHint : 0
; COMPUTE_PGM_RSRC2:SCRATCH_EN: 1
; COMPUTE_PGM_RSRC2:USER_SGPR: 15
; COMPUTE_PGM_RSRC2:TRAP_HANDLER: 0
; COMPUTE_PGM_RSRC2:TGID_X_EN: 1
; COMPUTE_PGM_RSRC2:TGID_Y_EN: 0
; COMPUTE_PGM_RSRC2:TGID_Z_EN: 0
; COMPUTE_PGM_RSRC2:TIDIG_COMP_CNT: 0
	.section	.text._Z20warp_exchange_kernelILj64ELj8EN6common25BlockedToStripedShuffleOpElEvPT2_S3_b,"axG",@progbits,_Z20warp_exchange_kernelILj64ELj8EN6common25BlockedToStripedShuffleOpElEvPT2_S3_b,comdat
	.protected	_Z20warp_exchange_kernelILj64ELj8EN6common25BlockedToStripedShuffleOpElEvPT2_S3_b ; -- Begin function _Z20warp_exchange_kernelILj64ELj8EN6common25BlockedToStripedShuffleOpElEvPT2_S3_b
	.globl	_Z20warp_exchange_kernelILj64ELj8EN6common25BlockedToStripedShuffleOpElEvPT2_S3_b
	.p2align	8
	.type	_Z20warp_exchange_kernelILj64ELj8EN6common25BlockedToStripedShuffleOpElEvPT2_S3_b,@function
_Z20warp_exchange_kernelILj64ELj8EN6common25BlockedToStripedShuffleOpElEvPT2_S3_b: ; @_Z20warp_exchange_kernelILj64ELj8EN6common25BlockedToStripedShuffleOpElEvPT2_S3_b
; %bb.0:
	s_load_b128 s[4:7], s[0:1], 0x0
	v_lshlrev_b32_e32 v5, 9, v0
	s_load_b32 s0, s[0:1], 0x10
	v_lshlrev_b32_e32 v189, 6, v0
	v_mbcnt_lo_u32_b32 v190, -1, 0
	s_waitcnt lgkmcnt(0)
	s_clause 0x1f
	global_load_b128 v[113:116], v5, s[4:5] offset:48
	global_load_b128 v[117:120], v5, s[4:5] offset:32
	;; [unrolled: 1-line block ×3, first 2 shown]
	global_load_b128 v[125:128], v5, s[4:5]
	global_load_b128 v[89:92], v5, s[4:5] offset:112
	global_load_b128 v[93:96], v5, s[4:5] offset:96
	;; [unrolled: 1-line block ×28, first 2 shown]
	s_waitcnt vmcnt(7)
	scratch_store_b128 off, v[59:62], off offset:1024 ; 16-byte Folded Spill
	s_waitcnt vmcnt(6)
	scratch_store_b128 off, v[63:66], off offset:1040 ; 16-byte Folded Spill
	s_waitcnt vmcnt(4)
	s_clause 0xc
	scratch_store_b128 off, v[67:70], off offset:1056
	scratch_store_b128 off, v[55:58], off offset:1072
	;; [unrolled: 1-line block ×13, first 2 shown]
	s_waitcnt vmcnt(3)
	scratch_store_b128 off, v[41:44], off offset:1264 ; 16-byte Folded Spill
	s_waitcnt vmcnt(2)
	scratch_store_b128 off, v[153:156], off offset:1280 ; 16-byte Folded Spill
	s_bitcmp0_b32 s0, 0
	s_mov_b32 s0, 0
	s_cbranch_scc0 .LBB29_2
; %bb.1:
	s_clause 0x1
	scratch_store_b128 off, v[125:128], off
	scratch_store_b128 off, v[121:124], off offset:16
	s_clause 0x1
	scratch_load_b64 v[29:30], off, off offset:24
	scratch_load_b128 v[5:8], off, off offset:8
	s_clause 0x1
	scratch_store_b128 off, v[117:120], off offset:32
	scratch_store_b128 off, v[113:116], off offset:48
	s_waitcnt vmcnt(0)
	v_mov_b32_dpp v133, v5 quad_perm:[3,0,1,2] row_mask:0xf bank_mask:0xf
	v_mov_b32_dpp v134, v6 quad_perm:[3,0,1,2] row_mask:0xf bank_mask:0xf
	;; [unrolled: 1-line block ×4, first 2 shown]
	s_clause 0x1
	scratch_load_b64 v[35:36], off, off offset:56
	scratch_load_b128 v[5:8], off, off offset:40
	s_clause 0x1
	scratch_store_b128 off, v[101:104], off offset:64
	scratch_store_b128 off, v[97:100], off offset:80
	s_waitcnt vmcnt(0)
	v_mov_b32_dpp v141, v5 quad_perm:[3,0,1,2] row_mask:0xf bank_mask:0xf
	v_mov_b32_dpp v142, v6 quad_perm:[3,0,1,2] row_mask:0xf bank_mask:0xf
	;; [unrolled: 1-line block ×4, first 2 shown]
	s_clause 0x1
	scratch_load_b64 v[37:38], off, off offset:88
	scratch_load_b128 v[5:8], off, off offset:72
	s_clause 0x1
	scratch_store_b128 off, v[93:96], off offset:96
	scratch_store_b128 off, v[89:92], off offset:112
	s_waitcnt vmcnt(1)
	v_mov_b32_dpp v37, v37 quad_perm:[1,2,3,0] row_mask:0xf bank_mask:0xf
	s_waitcnt vmcnt(0)
	v_mov_b32_dpp v145, v5 quad_perm:[3,0,1,2] row_mask:0xf bank_mask:0xf
	v_mov_b32_dpp v146, v6 quad_perm:[3,0,1,2] row_mask:0xf bank_mask:0xf
	;; [unrolled: 1-line block ×4, first 2 shown]
	s_clause 0x1
	scratch_load_b64 v[39:40], off, off offset:120
	scratch_load_b128 v[5:8], off, off offset:104
	s_clause 0x1
	scratch_store_b128 off, v[109:112], off offset:448
	scratch_store_b128 off, v[105:108], off offset:464
	v_mov_b32_dpp v38, v38 quad_perm:[1,2,3,0] row_mask:0xf bank_mask:0xf
	s_waitcnt vmcnt(1)
	v_mov_b32_dpp v39, v39 quad_perm:[1,2,3,0] row_mask:0xf bank_mask:0xf
	s_waitcnt vmcnt(0)
	v_mov_b32_dpp v149, v5 quad_perm:[3,0,1,2] row_mask:0xf bank_mask:0xf
	v_mov_b32_dpp v150, v6 quad_perm:[3,0,1,2] row_mask:0xf bank_mask:0xf
	;; [unrolled: 1-line block ×4, first 2 shown]
	s_clause 0x1
	scratch_load_b64 v[33:34], off, off offset:472
	scratch_load_b128 v[5:8], off, off offset:456
	s_clause 0x1
	scratch_store_b128 off, v[153:156], off offset:480
	scratch_store_b128 off, v[41:44], off offset:496
	v_mov_b32_dpp v40, v40 quad_perm:[1,2,3,0] row_mask:0xf bank_mask:0xf
	s_waitcnt vmcnt(0)
	v_mov_b32_dpp v137, v5 quad_perm:[3,0,1,2] row_mask:0xf bank_mask:0xf
	v_mov_b32_dpp v138, v6 quad_perm:[3,0,1,2] row_mask:0xf bank_mask:0xf
	;; [unrolled: 1-line block ×4, first 2 shown]
	s_clause 0x1
	scratch_load_b64 v[43:44], off, off offset:504
	scratch_load_b128 v[5:8], off, off offset:488
	s_clause 0x1
	scratch_store_b128 off, v[165:168], off offset:128
	scratch_store_b128 off, v[129:132], off offset:144
	s_waitcnt vmcnt(1)
	v_mov_b32_dpp v43, v43 quad_perm:[1,2,3,0] row_mask:0xf bank_mask:0xf
	s_waitcnt vmcnt(0)
	v_mov_b32_dpp v153, v5 quad_perm:[3,0,1,2] row_mask:0xf bank_mask:0xf
	v_mov_b32_dpp v154, v6 quad_perm:[3,0,1,2] row_mask:0xf bank_mask:0xf
	;; [unrolled: 1-line block ×4, first 2 shown]
	s_clause 0x1
	scratch_load_b64 v[31:32], off, off offset:152
	scratch_load_b128 v[5:8], off, off offset:136
	s_clause 0x1
	scratch_store_b128 off, v[161:164], off offset:160
	scratch_store_b128 off, v[45:48], off offset:176
	v_mov_b32_dpp v44, v44 quad_perm:[1,2,3,0] row_mask:0xf bank_mask:0xf
	s_waitcnt vmcnt(0)
	v_mov_b32_dpp v129, v5 quad_perm:[3,0,1,2] row_mask:0xf bank_mask:0xf
	v_mov_b32_dpp v130, v6 quad_perm:[3,0,1,2] row_mask:0xf bank_mask:0xf
	v_mov_b32_dpp v131, v7 quad_perm:[2,3,0,1] row_mask:0xf bank_mask:0xf
	v_mov_b32_dpp v132, v8 quad_perm:[2,3,0,1] row_mask:0xf bank_mask:0xf
	s_clause 0x1
	scratch_load_b64 v[45:46], off, off offset:184
	scratch_load_b128 v[5:8], off, off offset:168
	s_clause 0x1
	scratch_store_b128 off, v[157:160], off offset:192
	scratch_store_b128 off, v[9:12], off offset:208
	s_clause 0x1
	scratch_load_b64 v[41:42], off, off offset:216
	scratch_load_b128 v[9:12], off, off offset:200
	s_clause 0x1
	scratch_store_b128 off, v[83:86], off offset:224
	scratch_store_b128 off, v[13:16], off offset:240
	;; [unrolled: 6-line block ×4, first 2 shown]
	s_clause 0x1
	scratch_load_b32 v0, off, off offset:316
	scratch_load_b128 v[55:58], off, off offset:296
	s_clause 0x1
	scratch_store_b128 off, v[63:66], off offset:416
	scratch_store_b128 off, v[59:62], off offset:432
	s_clause 0x1
	scratch_load_b64 v[63:64], off, off offset:440
	scratch_load_b128 v[59:62], off, off offset:424
	s_clause 0x2
	scratch_store_b128 off, v[141:144], off offset:40
	scratch_store_b128 off, v[145:148], off offset:72
	;; [unrolled: 1-line block ×3, first 2 shown]
	v_mov_b32_dpp v66, v36 quad_perm:[1,2,3,0] row_mask:0xf bank_mask:0xf
	v_mov_b32_dpp v65, v35 quad_perm:[1,2,3,0] row_mask:0xf bank_mask:0xf
	v_dual_mov_b32 v88, v74 :: v_dual_mov_b32 v87, v73
	v_dual_mov_b32 v86, v72 :: v_dual_mov_b32 v85, v71
	s_waitcnt vmcnt(11)
	v_mov_b32_dpp v36, v46 quad_perm:[1,2,3,0] row_mask:0xf bank_mask:0xf
	s_waitcnt vmcnt(10)
	v_mov_b32_dpp v5, v5 quad_perm:[3,0,1,2] row_mask:0xf bank_mask:0xf
	v_mov_b32_dpp v6, v6 quad_perm:[3,0,1,2] row_mask:0xf bank_mask:0xf
	v_mov_b32_dpp v7, v7 quad_perm:[2,3,0,1] row_mask:0xf bank_mask:0xf
	v_mov_b32_dpp v8, v8 quad_perm:[2,3,0,1] row_mask:0xf bank_mask:0xf
	s_waitcnt vmcnt(6)
	v_mov_b32_dpp v13, v13 quad_perm:[3,0,1,2] row_mask:0xf bank_mask:0xf
	v_mov_b32_dpp v14, v14 quad_perm:[3,0,1,2] row_mask:0xf bank_mask:0xf
	v_mov_b32_dpp v15, v15 quad_perm:[2,3,0,1] row_mask:0xf bank_mask:0xf
	v_mov_b32_dpp v16, v16 quad_perm:[2,3,0,1] row_mask:0xf bank_mask:0xf
	s_waitcnt vmcnt(4)
	v_mov_b32_dpp v51, v51 quad_perm:[3,0,1,2] row_mask:0xf bank_mask:0xf
	v_mov_b32_dpp v52, v52 quad_perm:[3,0,1,2] row_mask:0xf bank_mask:0xf
	v_mov_b32_dpp v53, v53 quad_perm:[2,3,0,1] row_mask:0xf bank_mask:0xf
	v_mov_b32_dpp v54, v54 quad_perm:[2,3,0,1] row_mask:0xf bank_mask:0xf
	s_waitcnt vmcnt(2)
	v_mov_b32_dpp v55, v55 quad_perm:[3,0,1,2] row_mask:0xf bank_mask:0xf
	v_mov_b32_dpp v56, v56 quad_perm:[3,0,1,2] row_mask:0xf bank_mask:0xf
	v_mov_b32_dpp v57, v57 quad_perm:[2,3,0,1] row_mask:0xf bank_mask:0xf
	v_mov_b32_dpp v58, v58 quad_perm:[2,3,0,1] row_mask:0xf bank_mask:0xf
	s_clause 0x8
	scratch_store_b128 off, v[149:152], off offset:104
	scratch_store_b128 off, v[5:8], off offset:168
	;; [unrolled: 1-line block ×6, first 2 shown]
	scratch_store_b64 off, v[25:26], off offset:336
	scratch_store_b128 off, v[71:74], off offset:352
	scratch_store_b64 off, v[17:18], off offset:368
	v_mov_b32_dpp v46, v48 quad_perm:[1,2,3,0] row_mask:0xf bank_mask:0xf
	v_mov_b32_dpp v48, v0 quad_perm:[1,2,3,0] row_mask:0xf bank_mask:0xf
	s_clause 0x3
	scratch_load_b32 v0, off, off offset:372
	scratch_load_b32 v7, off, off offset:340
	scratch_load_b64 v[5:6], off, off offset:328
	scratch_load_b64 v[15:16], off, off offset:360
	s_waitcnt vmcnt(4)
	v_mov_b32_dpp v59, v59 quad_perm:[3,0,1,2] row_mask:0xf bank_mask:0xf
	v_mov_b32_dpp v60, v60 quad_perm:[3,0,1,2] row_mask:0xf bank_mask:0xf
	;; [unrolled: 1-line block ×20, first 2 shown]
	s_waitcnt vmcnt(2)
	v_mov_b32_dpp v8, v7 quad_perm:[2,3,0,1] row_mask:0xf bank_mask:0xf
	s_waitcnt vmcnt(1)
	v_mov_b32_dpp v5, v5 quad_perm:[3,0,1,2] row_mask:0xf bank_mask:0xf
	v_mov_b32_dpp v6, v6 quad_perm:[3,0,1,2] row_mask:0xf bank_mask:0xf
	;; [unrolled: 1-line block ×3, first 2 shown]
	scratch_store_b128 off, v[5:8], off offset:328
	s_waitcnt vmcnt(0)
	v_mov_b32_dpp v5, v15 quad_perm:[3,0,1,2] row_mask:0xf bank_mask:0xf
	v_mov_b32_dpp v6, v16 quad_perm:[3,0,1,2] row_mask:0xf bank_mask:0xf
	;; [unrolled: 1-line block ×4, first 2 shown]
	s_clause 0x2
	scratch_store_b128 off, v[5:8], off offset:360
	scratch_store_b128 off, v[67:70], off offset:384
	;; [unrolled: 1-line block ×3, first 2 shown]
	s_clause 0x1
	scratch_load_b64 v[5:6], off, off offset:392
	scratch_load_b64 v[15:16], off, off offset:404
	v_add_nc_u32_e32 v0, -1, v190
	v_mov_b32_dpp v7, v1 quad_perm:[2,3,0,1] row_mask:0xf bank_mask:0xf
	scratch_store_b128 off, v[59:62], off offset:424
	v_and_b32_e32 v0, 3, v0
	s_waitcnt vmcnt(1)
	v_mov_b32_dpp v5, v5 quad_perm:[3,0,1,2] row_mask:0xf bank_mask:0xf
	v_mov_b32_dpp v6, v6 quad_perm:[3,0,1,2] row_mask:0xf bank_mask:0xf
	s_waitcnt vmcnt(0)
	v_mov_b32_dpp v8, v15 quad_perm:[2,3,0,1] row_mask:0xf bank_mask:0xf
	v_lshlrev_b32_e32 v15, 3, v0
	v_mov_b32_dpp v53, v16 quad_perm:[1,2,3,0] row_mask:0xf bank_mask:0xf
	v_and_b32_e32 v0, 3, v190
	scratch_store_b128 off, v[5:8], off offset:392
	v_mov_b32_dpp v5, v29 quad_perm:[1,2,3,0] row_mask:0xf bank_mask:0xf
	v_mov_b32_dpp v6, v30 quad_perm:[1,2,3,0] row_mask:0xf bank_mask:0xf
	s_clause 0x4
	scratch_store_b128 off, v[133:136], off offset:8
	scratch_store_b64 off, v[5:6], off offset:24
	scratch_store_b64 off, v[65:66], off offset:56
	;; [unrolled: 1-line block ×4, first 2 shown]
	s_clause 0x3
	scratch_load_b64 v[5:6], v15, off
	scratch_load_b64 v[7:8], v15, off offset:32
	scratch_load_b64 v[37:38], v15, off offset:64
	;; [unrolled: 1-line block ×3, first 2 shown]
	v_xor_b32_e32 v16, 2, v0
	v_lshlrev_b32_e32 v0, 3, v0
	s_waitcnt vmcnt(2)
	scratch_store_b128 off, v[5:8], off offset:640
	s_waitcnt vmcnt(0)
	scratch_store_b128 off, v[37:40], off offset:656
	v_mov_b32_dpp v5, v41 quad_perm:[1,2,3,0] row_mask:0xf bank_mask:0xf
	v_mov_b32_dpp v6, v42 quad_perm:[1,2,3,0] row_mask:0xf bank_mask:0xf
	s_clause 0x6
	scratch_store_b128 off, v[9:12], off offset:200
	scratch_store_b64 off, v[5:6], off offset:216
	scratch_store_b64 off, v[45:46], off offset:248
	;; [unrolled: 1-line block ×6, first 2 shown]
	s_clause 0x5
	scratch_load_b64 v[5:6], v15, off offset:192
	scratch_load_b64 v[7:8], v15, off offset:224
	;; [unrolled: 1-line block ×6, first 2 shown]
	v_lshlrev_b32_e32 v47, 3, v16
	s_waitcnt vmcnt(4)
	scratch_store_b128 off, v[5:8], off offset:688
	s_waitcnt vmcnt(2)
	scratch_store_b128 off, v[9:12], off offset:704
	v_mov_b32_dpp v5, v33 quad_perm:[1,2,3,0] row_mask:0xf bank_mask:0xf
	v_mov_b32_dpp v6, v34 quad_perm:[1,2,3,0] row_mask:0xf bank_mask:0xf
	s_clause 0x4
	scratch_store_b128 off, v[137:140], off offset:456
	scratch_store_b64 off, v[5:6], off offset:472
	scratch_store_b64 off, v[43:44], off offset:504
	;; [unrolled: 1-line block ×4, first 2 shown]
	s_clause 0x3
	scratch_load_b64 v[5:6], v15, off offset:384
	scratch_load_b64 v[7:8], v15, off offset:416
	;; [unrolled: 1-line block ×4, first 2 shown]
	s_waitcnt vmcnt(4)
	scratch_store_b128 off, v[37:40], off offset:720
	s_waitcnt vmcnt(2)
	scratch_store_b128 off, v[5:8], off offset:736
	s_clause 0x3
	scratch_load_b64 v[5:6], v47, off
	scratch_load_b64 v[7:8], v47, off offset:32
	scratch_load_b64 v[37:38], v47, off offset:64
	scratch_load_b64 v[39:40], v47, off offset:96
	s_waitcnt vmcnt(4)
	scratch_store_b128 off, v[9:12], off offset:752
	s_waitcnt vmcnt(2)
	scratch_store_b128 off, v[5:8], off offset:768
	s_clause 0x3
	scratch_load_b64 v[7:8], v0, off offset:480
	scratch_load_b64 v[5:6], v0, off offset:448
	;; [unrolled: 1-line block ×4, first 2 shown]
	s_waitcnt vmcnt(2)
	scratch_store_b128 off, v[5:8], off offset:624
	s_waitcnt vmcnt(0)
	scratch_store_b128 off, v[9:12], off offset:608
	s_clause 0x3
	scratch_load_b64 v[5:6], v0, off
	scratch_load_b64 v[7:8], v0, off offset:32
	scratch_load_b64 v[9:10], v0, off offset:64
	;; [unrolled: 1-line block ×3, first 2 shown]
	s_waitcnt vmcnt(2)
	scratch_store_b128 off, v[5:8], off offset:512
	s_waitcnt vmcnt(0)
	scratch_store_b128 off, v[9:12], off offset:528
	v_mov_b32_dpp v5, v31 quad_perm:[1,2,3,0] row_mask:0xf bank_mask:0xf
	v_mov_b32_dpp v6, v32 quad_perm:[1,2,3,0] row_mask:0xf bank_mask:0xf
	s_clause 0x2
	scratch_store_b128 off, v[129:132], off offset:136
	scratch_store_b64 off, v[5:6], off offset:152
	scratch_store_b64 off, v[35:36], off offset:184
	s_clause 0x3
	scratch_load_b64 v[5:6], v0, off offset:128
	scratch_load_b64 v[7:8], v0, off offset:160
	;; [unrolled: 1-line block ×4, first 2 shown]
	s_waitcnt vmcnt(2)
	scratch_store_b128 off, v[5:8], off offset:544
	s_waitcnt vmcnt(0)
	scratch_store_b128 off, v[9:12], off offset:560
	s_clause 0x3
	scratch_load_b64 v[5:6], v0, off offset:256
	scratch_load_b64 v[7:8], v0, off offset:288
	;; [unrolled: 1-line block ×4, first 2 shown]
	v_add_nc_u32_e32 v0, 3, v16
	s_waitcnt vmcnt(2)
	scratch_store_b128 off, v[5:8], off offset:576
	s_waitcnt vmcnt(0)
	scratch_store_b128 off, v[9:12], off offset:592
	s_clause 0x3
	scratch_load_b64 v[5:6], v47, off offset:128
	scratch_load_b64 v[7:8], v47, off offset:160
	;; [unrolled: 1-line block ×4, first 2 shown]
	v_lshlrev_b32_e32 v49, 3, v0
	scratch_store_b128 off, v[37:40], off offset:784
	s_waitcnt vmcnt(2)
	scratch_store_b128 off, v[5:8], off offset:800
	s_clause 0x3
	scratch_load_b64 v[5:6], v47, off offset:256
	scratch_load_b64 v[7:8], v47, off offset:288
	;; [unrolled: 1-line block ×4, first 2 shown]
	v_or_b32_e32 v16, 0xa0, v49
	s_waitcnt vmcnt(4)
	scratch_store_b128 off, v[9:12], off offset:816
	s_waitcnt vmcnt(2)
	scratch_store_b128 off, v[5:8], off offset:832
	v_and_b32_e32 v9, 3, v0
	v_or_b32_e32 v0, 0x60, v49
	s_clause 0x2
	scratch_load_b64 v[13:14], v47, off offset:480
	scratch_load_b64 v[5:6], v47, off offset:384
	scratch_load_b64 v[7:8], v47, off offset:416
	s_waitcnt vmcnt(3)
	scratch_store_b128 off, v[29:32], off offset:848
	v_lshlrev_b32_e32 v48, 3, v9
	s_clause 0x4
	scratch_load_b64 v[9:10], v48, off offset:64
	scratch_load_b64 v[29:30], v48, off offset:128
	;; [unrolled: 1-line block ×3, first 2 shown]
	scratch_load_b64 v[11:12], v0, off
	scratch_load_b64 v[31:32], v16, off
	v_or_b32_e32 v0, 0xe0, v49
	v_or_b32_e32 v16, 0x1a0, v49
	scratch_load_b64 v[35:36], v0, off
	v_or_b32_e32 v0, 0x120, v49
	s_waitcnt vmcnt(5)
	v_mov_b32_dpp v9, v9 quad_perm:[3,0,1,2] row_mask:0xf bank_mask:0xf
	v_mov_b32_dpp v10, v10 quad_perm:[3,0,1,2] row_mask:0xf bank_mask:0xf
	s_waitcnt vmcnt(2)
	v_mov_b32_dpp v11, v11 quad_perm:[3,0,1,2] row_mask:0xf bank_mask:0xf
	v_mov_b32_dpp v12, v12 quad_perm:[3,0,1,2] row_mask:0xf bank_mask:0xf
	;; [unrolled: 1-line block ×4, first 2 shown]
	s_waitcnt vmcnt(1)
	v_mov_b32_dpp v31, v31 quad_perm:[3,0,1,2] row_mask:0xf bank_mask:0xf
	v_mov_b32_dpp v32, v32 quad_perm:[3,0,1,2] row_mask:0xf bank_mask:0xf
	s_clause 0x1
	scratch_store_b128 off, v[9:12], off offset:912
	scratch_store_b128 off, v[29:32], off offset:928
	v_mov_b32_dpp v9, v33 quad_perm:[3,0,1,2] row_mask:0xf bank_mask:0xf
	v_mov_b32_dpp v10, v34 quad_perm:[3,0,1,2] row_mask:0xf bank_mask:0xf
	s_waitcnt vmcnt(0)
	v_mov_b32_dpp v11, v35 quad_perm:[3,0,1,2] row_mask:0xf bank_mask:0xf
	v_mov_b32_dpp v12, v36 quad_perm:[3,0,1,2] row_mask:0xf bank_mask:0xf
	s_clause 0x4
	scratch_load_b64 v[29:30], v48, off offset:256
	scratch_load_b64 v[33:34], v48, off offset:320
	;; [unrolled: 1-line block ×4, first 2 shown]
	scratch_load_b64 v[31:32], v0, off
	v_or_b32_e32 v0, 0x160, v49
	s_clause 0x1
	scratch_load_b64 v[39:40], v0, off
	scratch_load_b64 v[41:42], v16, off
	v_or_b32_e32 v0, 0x1e0, v49
	scratch_load_b64 v[43:44], v0, off
	v_lshlrev_b32_e32 v0, 2, v190
	s_delay_alu instid0(VALU_DEP_1)
	v_xor_b32_e32 v0, 16, v0
	s_waitcnt vmcnt(7)
	v_mov_b32_dpp v29, v29 quad_perm:[3,0,1,2] row_mask:0xf bank_mask:0xf
	v_mov_b32_dpp v30, v30 quad_perm:[3,0,1,2] row_mask:0xf bank_mask:0xf
	s_waitcnt vmcnt(3)
	v_mov_b32_dpp v31, v31 quad_perm:[3,0,1,2] row_mask:0xf bank_mask:0xf
	v_mov_b32_dpp v32, v32 quad_perm:[3,0,1,2] row_mask:0xf bank_mask:0xf
	s_clause 0x1
	scratch_store_b128 off, v[9:12], off offset:944
	scratch_store_b128 off, v[29:32], off offset:960
	v_mov_b32_dpp v9, v33 quad_perm:[3,0,1,2] row_mask:0xf bank_mask:0xf
	v_mov_b32_dpp v10, v34 quad_perm:[3,0,1,2] row_mask:0xf bank_mask:0xf
	s_waitcnt vmcnt(2)
	v_mov_b32_dpp v11, v39 quad_perm:[3,0,1,2] row_mask:0xf bank_mask:0xf
	v_mov_b32_dpp v12, v40 quad_perm:[3,0,1,2] row_mask:0xf bank_mask:0xf
	;; [unrolled: 1-line block ×4, first 2 shown]
	s_waitcnt vmcnt(1)
	v_mov_b32_dpp v31, v41 quad_perm:[3,0,1,2] row_mask:0xf bank_mask:0xf
	v_mov_b32_dpp v32, v42 quad_perm:[3,0,1,2] row_mask:0xf bank_mask:0xf
	s_clause 0x1
	scratch_store_b128 off, v[9:12], off offset:976
	scratch_store_b128 off, v[29:32], off offset:992
	v_mov_b32_dpp v9, v37 quad_perm:[3,0,1,2] row_mask:0xf bank_mask:0xf
	v_mov_b32_dpp v10, v38 quad_perm:[3,0,1,2] row_mask:0xf bank_mask:0xf
	s_waitcnt vmcnt(0)
	v_mov_b32_dpp v11, v43 quad_perm:[3,0,1,2] row_mask:0xf bank_mask:0xf
	v_mov_b32_dpp v12, v44 quad_perm:[3,0,1,2] row_mask:0xf bank_mask:0xf
	scratch_load_b128 v[33:36], off, off offset:632
	scratch_store_b128 off, v[9:12], off offset:1008
	scratch_load_b128 v[9:12], off, off offset:648
	s_waitcnt vmcnt(1)
	v_mov_b32_dpp v29, v35 quad_perm:[1,2,3,0] row_mask:0xf bank_mask:0xf
	v_mov_b32_dpp v30, v36 quad_perm:[1,2,3,0] row_mask:0xf bank_mask:0xf
	ds_bpermute_b32 v58, v0, v33
	ds_bpermute_b32 v59, v0, v34
	s_clause 0x1
	scratch_load_b64 v[33:34], v15, off offset:128
	scratch_load_b64 v[35:36], v15, off offset:160
	s_waitcnt vmcnt(2)
	v_mov_b32_dpp v31, v9 quad_perm:[1,2,3,0] row_mask:0xf bank_mask:0xf
	v_mov_b32_dpp v32, v10 quad_perm:[1,2,3,0] row_mask:0xf bank_mask:0xf
	;; [unrolled: 1-line block ×4, first 2 shown]
	s_waitcnt vmcnt(0)
	s_clause 0x1
	scratch_store_b128 off, v[33:36], off offset:672
	scratch_store_b128 off, v[29:32], off offset:640
	s_clause 0x1
	scratch_load_b64 v[15:16], off, off offset:648
	scratch_load_b128 v[29:32], off, off offset:664
	s_waitcnt vmcnt(0)
	v_mov_b32_dpp v11, v29 quad_perm:[1,2,3,0] row_mask:0xf bank_mask:0xf
	v_mov_b32_dpp v12, v30 quad_perm:[1,2,3,0] row_mask:0xf bank_mask:0xf
	;; [unrolled: 1-line block ×4, first 2 shown]
	ds_bpermute_b32 v31, v0, v15
	ds_bpermute_b32 v32, v0, v16
	scratch_store_b128 off, v[9:12], off offset:656
	s_clause 0x1
	scratch_load_b64 v[15:16], off, off offset:664
	scratch_load_b128 v[9:12], off, off offset:680
	s_waitcnt vmcnt(1)
	ds_bpermute_b32 v33, v0, v15
	s_waitcnt vmcnt(0)
	v_mov_b32_dpp v37, v9 quad_perm:[1,2,3,0] row_mask:0xf bank_mask:0xf
	v_mov_b32_dpp v38, v10 quad_perm:[1,2,3,0] row_mask:0xf bank_mask:0xf
	ds_bpermute_b32 v34, v0, v16
	v_mov_b32_dpp v9, v11 quad_perm:[1,2,3,0] row_mask:0xf bank_mask:0xf
	v_mov_b32_dpp v10, v12 quad_perm:[1,2,3,0] row_mask:0xf bank_mask:0xf
	scratch_store_b128 off, v[35:38], off offset:672
	s_clause 0x1
	scratch_load_b64 v[15:16], off, off offset:680
	scratch_load_b128 v[35:38], off, off offset:696
	s_waitcnt vmcnt(0)
	v_mov_b32_dpp v11, v35 quad_perm:[1,2,3,0] row_mask:0xf bank_mask:0xf
	v_mov_b32_dpp v12, v36 quad_perm:[1,2,3,0] row_mask:0xf bank_mask:0xf
	ds_bpermute_b32 v35, v0, v15
	ds_bpermute_b32 v36, v0, v16
	v_mov_b32_dpp v39, v37 quad_perm:[1,2,3,0] row_mask:0xf bank_mask:0xf
	v_mov_b32_dpp v40, v38 quad_perm:[1,2,3,0] row_mask:0xf bank_mask:0xf
	scratch_store_b128 off, v[9:12], off offset:688
	s_clause 0x1
	scratch_load_b64 v[15:16], off, off offset:696
	scratch_load_b128 v[9:12], off, off offset:712
	s_waitcnt vmcnt(1)
	ds_bpermute_b32 v37, v0, v15
	s_waitcnt vmcnt(0)
	v_mov_b32_dpp v41, v9 quad_perm:[1,2,3,0] row_mask:0xf bank_mask:0xf
	v_mov_b32_dpp v42, v10 quad_perm:[1,2,3,0] row_mask:0xf bank_mask:0xf
	ds_bpermute_b32 v38, v0, v16
	v_mov_b32_dpp v9, v11 quad_perm:[1,2,3,0] row_mask:0xf bank_mask:0xf
	v_mov_b32_dpp v10, v12 quad_perm:[1,2,3,0] row_mask:0xf bank_mask:0xf
	scratch_store_b128 off, v[39:42], off offset:704
	s_clause 0x1
	scratch_load_b64 v[15:16], off, off offset:712
	scratch_load_b128 v[39:42], off, off offset:728
	s_waitcnt vmcnt(0)
	v_mov_b32_dpp v11, v39 quad_perm:[1,2,3,0] row_mask:0xf bank_mask:0xf
	v_mov_b32_dpp v12, v40 quad_perm:[1,2,3,0] row_mask:0xf bank_mask:0xf
	ds_bpermute_b32 v39, v0, v15
	ds_bpermute_b32 v40, v0, v16
	v_mov_b32_dpp v43, v41 quad_perm:[1,2,3,0] row_mask:0xf bank_mask:0xf
	v_mov_b32_dpp v44, v42 quad_perm:[1,2,3,0] row_mask:0xf bank_mask:0xf
	;; [unrolled: 23-line block ×3, first 2 shown]
	scratch_store_b128 off, v[9:12], off offset:752
	s_clause 0x1
	scratch_load_b64 v[15:16], off, off offset:760
	scratch_load_b128 v[9:12], off, off offset:776
	s_waitcnt vmcnt(1)
	ds_bpermute_b32 v45, v0, v15
	s_waitcnt vmcnt(0)
	v_mov_b32_dpp v52, v9 quad_perm:[2,3,0,1] row_mask:0xf bank_mask:0xf
	v_mov_b32_dpp v53, v10 quad_perm:[2,3,0,1] row_mask:0xf bank_mask:0xf
	;; [unrolled: 1-line block ×4, first 2 shown]
	ds_bpermute_b32 v46, v0, v16
	scratch_store_b128 off, v[50:53], off offset:768
	s_clause 0x1
	scratch_load_b64 v[15:16], off, off offset:776
	scratch_load_b128 v[9:12], off, off offset:792
	s_waitcnt vmcnt(0)
	v_mov_b32_dpp v56, v9 quad_perm:[2,3,0,1] row_mask:0xf bank_mask:0xf
	v_mov_b32_dpp v57, v10 quad_perm:[2,3,0,1] row_mask:0xf bank_mask:0xf
	v_mov_b32_dpp v50, v11 quad_perm:[2,3,0,1] row_mask:0xf bank_mask:0xf
	v_mov_b32_dpp v51, v12 quad_perm:[2,3,0,1] row_mask:0xf bank_mask:0xf
	ds_bpermute_b32 v11, v0, v15
	ds_bpermute_b32 v12, v0, v16
	scratch_store_b128 off, v[54:57], off offset:784
	s_clause 0x1
	scratch_load_b128 v[52:55], off, off offset:808
	scratch_load_b64 v[9:10], off, off offset:792
	s_waitcnt vmcnt(1)
	v_mov_b32_dpp v52, v52 quad_perm:[2,3,0,1] row_mask:0xf bank_mask:0xf
	v_mov_b32_dpp v53, v53 quad_perm:[2,3,0,1] row_mask:0xf bank_mask:0xf
	v_mov_b32_dpp v54, v54 quad_perm:[2,3,0,1] row_mask:0xf bank_mask:0xf
	v_mov_b32_dpp v55, v55 quad_perm:[2,3,0,1] row_mask:0xf bank_mask:0xf
	s_waitcnt vmcnt(0)
	ds_bpermute_b32 v9, v0, v9
	ds_bpermute_b32 v10, v0, v10
	scratch_store_b128 off, v[50:53], off offset:800
	s_clause 0x1
	scratch_load_b128 v[50:53], off, off offset:824
	scratch_load_b64 v[15:16], off, off offset:808
	s_waitcnt vmcnt(1)
	v_mov_b32_dpp v56, v50 quad_perm:[2,3,0,1] row_mask:0xf bank_mask:0xf
	v_mov_b32_dpp v57, v51 quad_perm:[2,3,0,1] row_mask:0xf bank_mask:0xf
	;; [unrolled: 1-line block ×4, first 2 shown]
	s_waitcnt vmcnt(0)
	ds_bpermute_b32 v15, v0, v15
	ds_bpermute_b32 v16, v0, v16
	scratch_store_b128 off, v[54:57], off offset:816
	s_clause 0x1
	scratch_load_b64 v[29:30], off, off offset:824
	scratch_load_b128 v[52:55], off, off offset:840
	s_waitcnt vmcnt(1)
	ds_bpermute_b32 v29, v0, v29
	s_waitcnt vmcnt(0)
	v_mov_b32_dpp v52, v52 quad_perm:[2,3,0,1] row_mask:0xf bank_mask:0xf
	v_mov_b32_dpp v53, v53 quad_perm:[2,3,0,1] row_mask:0xf bank_mask:0xf
	s_clause 0x1
	scratch_store_b128 off, v[50:53], off offset:832
	scratch_store_b128 off, v[5:8], off offset:864
	s_clause 0x1
	scratch_load_b64 v[60:61], off, off offset:840
	scratch_load_b128 v[50:53], off, off offset:856
	v_or_b32_e32 v8, 32, v49
	v_mov_b32_dpp v54, v54 quad_perm:[2,3,0,1] row_mask:0xf bank_mask:0xf
	v_mov_b32_dpp v55, v55 quad_perm:[2,3,0,1] row_mask:0xf bank_mask:0xf
	;; [unrolled: 1-line block ×3, first 2 shown]
	ds_bpermute_b32 v30, v0, v30
	scratch_store_b64 off, v[13:14], off offset:888
	s_waitcnt vmcnt(0)
	v_mov_b32_dpp v56, v50 quad_perm:[2,3,0,1] row_mask:0xf bank_mask:0xf
	v_mov_b32_dpp v57, v51 quad_perm:[2,3,0,1] row_mask:0xf bank_mask:0xf
	s_clause 0x1
	scratch_load_b64 v[50:51], v48, off
	scratch_load_b64 v[48:49], v8, off
	v_mov_b32_dpp v5, v52 quad_perm:[2,3,0,1] row_mask:0xf bank_mask:0xf
	v_mov_b32_dpp v6, v53 quad_perm:[2,3,0,1] row_mask:0xf bank_mask:0xf
	s_waitcnt vmcnt(1)
	v_mov_b32_dpp v50, v50 quad_perm:[3,0,1,2] row_mask:0xf bank_mask:0xf
	v_mov_b32_dpp v51, v51 quad_perm:[3,0,1,2] row_mask:0xf bank_mask:0xf
	s_waitcnt vmcnt(0)
	v_mov_b32_dpp v52, v48 quad_perm:[3,0,1,2] row_mask:0xf bank_mask:0xf
	v_mov_b32_dpp v53, v49 quad_perm:[3,0,1,2] row_mask:0xf bank_mask:0xf
	scratch_load_b64 v[47:48], v47, off offset:448
	v_mov_b32_dpp v49, v13 quad_perm:[2,3,0,1] row_mask:0xf bank_mask:0xf
	scratch_store_b128 off, v[50:53], off offset:896
	s_clause 0x3
	scratch_load_b32 v8, off, off offset:876
	scratch_load_b32 v50, off, off offset:892
	scratch_load_b64 v[13:14], off, off offset:920
	scratch_load_b64 v[51:52], off, off offset:936
	s_waitcnt vmcnt(4)
	v_mov_b32_dpp v47, v47 quad_perm:[2,3,0,1] row_mask:0xf bank_mask:0xf
	v_mov_b32_dpp v48, v48 quad_perm:[2,3,0,1] row_mask:0xf bank_mask:0xf
	s_waitcnt vmcnt(3)
	v_mov_b32_dpp v8, v8 quad_perm:[2,3,0,1] row_mask:0xf bank_mask:0xf
	s_waitcnt vmcnt(2)
	v_mov_b32_dpp v50, v50 quad_perm:[2,3,0,1] row_mask:0xf bank_mask:0xf
	s_clause 0x2
	scratch_store_b128 off, v[5:8], off offset:864
	scratch_store_b128 off, v[47:50], off offset:880
	;; [unrolled: 1-line block ×3, first 2 shown]
	s_clause 0x3
	scratch_load_b64 v[7:8], off, off offset:520
	scratch_load_b64 v[47:48], off, off offset:536
	;; [unrolled: 1-line block ×4, first 2 shown]
	ds_bpermute_b32 v5, v0, v60
	ds_bpermute_b32 v6, v0, v61
	s_clause 0x7
	scratch_load_b64 v[55:56], off, off offset:584
	scratch_load_b64 v[60:61], off, off offset:600
	;; [unrolled: 1-line block ×8, first 2 shown]
	s_waitcnt vmcnt(13)
	ds_bpermute_b32 v13, v0, v13
	ds_bpermute_b32 v14, v0, v14
	s_waitcnt vmcnt(12)
	ds_bpermute_b32 v51, v0, v51
	ds_bpermute_b32 v52, v0, v52
	;; [unrolled: 3-line block ×14, first 2 shown]
	s_waitcnt lgkmcnt(22)
	scratch_store_b64 off, v[7:8], off offset:520
	s_waitcnt lgkmcnt(20)
	scratch_store_b64 off, v[47:48], off offset:536
	;; [unrolled: 2-line block ×6, first 2 shown]
	s_waitcnt lgkmcnt(10)
	s_clause 0x3
	scratch_store_b64 off, v[62:63], off offset:616
	scratch_store_b64 off, v[58:59], off offset:632
	;; [unrolled: 1-line block ×4, first 2 shown]
	s_waitcnt lgkmcnt(8)
	scratch_store_b64 off, v[64:65], off offset:952
	s_waitcnt lgkmcnt(6)
	scratch_store_b64 off, v[66:67], off offset:968
	;; [unrolled: 2-line block ×4, first 2 shown]
	s_waitcnt lgkmcnt(0)
	s_clause 0x8
	scratch_store_b64 off, v[72:73], off offset:1016
	scratch_store_b64 off, v[31:32], off offset:648
	;; [unrolled: 1-line block ×9, first 2 shown]
	s_clause 0x3
	scratch_load_b64 v[7:8], off, off offset:856
	scratch_load_b64 v[13:14], off, off offset:872
	;; [unrolled: 1-line block ×4, first 2 shown]
	v_bfe_u32 v43, v190, 2, 1
	s_delay_alu instid0(VALU_DEP_1) | instskip(SKIP_1) | instid1(VALU_DEP_2)
	v_xor_b32_e32 v36, 15, v43
	v_xor_b32_e32 v35, 7, v43
	v_lshlrev_b32_e32 v37, 3, v36
	v_xor_b32_e32 v36, 31, v43
	s_delay_alu instid0(VALU_DEP_3) | instskip(NEXT) | instid1(VALU_DEP_2)
	v_lshlrev_b32_e32 v35, 3, v35
	v_lshlrev_b32_e32 v39, 3, v36
	v_xor_b32_e32 v36, 63, v43
	s_delay_alu instid0(VALU_DEP_1)
	v_lshlrev_b32_e32 v41, 3, v36
	s_clause 0x3
	scratch_load_b64 v[35:36], v35, off offset:512
	scratch_load_b64 v[37:38], v37, off offset:512
	;; [unrolled: 1-line block ×4, first 2 shown]
	scratch_store_b64 off, v[11:12], off offset:776
	s_waitcnt vmcnt(7)
	ds_bpermute_b32 v7, v0, v7
	ds_bpermute_b32 v8, v0, v8
	s_waitcnt vmcnt(6)
	ds_bpermute_b32 v13, v0, v13
	ds_bpermute_b32 v14, v0, v14
	;; [unrolled: 3-line block ×4, first 2 shown]
	s_clause 0x3
	scratch_store_b64 off, v[9:10], off offset:792
	scratch_store_b64 off, v[15:16], off offset:808
	;; [unrolled: 1-line block ×4, first 2 shown]
	s_waitcnt lgkmcnt(6)
	scratch_store_b64 off, v[7:8], off offset:856
	s_waitcnt lgkmcnt(4)
	scratch_store_b64 off, v[13:14], off offset:872
	;; [unrolled: 2-line block ×4, first 2 shown]
	v_xor_b32_e32 v5, 1, v43
	v_xor_b32_e32 v6, 3, v43
	v_lshlrev_b32_e32 v15, 3, v43
	s_waitcnt vmcnt(3)
	ds_bpermute_b32 v131, v0, v35
	v_lshl_or_b32 v5, v5, 3, 0x200
	v_lshlrev_b32_e32 v7, 3, v6
	v_sub_nc_u32_e32 v13, 0x200, v15
	s_clause 0x3
	scratch_load_b64 v[5:6], v5, off
	scratch_load_b64 v[7:8], v7, off offset:512
	scratch_load_b64 v[9:10], v13, off offset:40
	;; [unrolled: 1-line block ×3, first 2 shown]
	ds_bpermute_b32 v132, v0, v36
	s_waitcnt vmcnt(6)
	ds_bpermute_b32 v139, v0, v37
	ds_bpermute_b32 v140, v0, v38
	s_waitcnt vmcnt(5)
	ds_bpermute_b32 v143, v0, v39
	;; [unrolled: 3-line block ×7, first 2 shown]
	ds_bpermute_b32 v158, v0, v12
	s_clause 0x3
	scratch_load_b64 v[5:6], v13, off offset:88
	scratch_load_b64 v[7:8], v13, off offset:104
	scratch_load_b64 v[9:10], v13, off offset:136
	scratch_load_b64 v[11:12], v13, off offset:152
	s_waitcnt vmcnt(3)
	ds_bpermute_b32 v159, v0, v5
	ds_bpermute_b32 v160, v0, v6
	s_waitcnt vmcnt(2)
	ds_bpermute_b32 v137, v0, v7
	ds_bpermute_b32 v138, v0, v8
	s_waitcnt vmcnt(1)
	ds_bpermute_b32 v165, v0, v9
	ds_bpermute_b32 v166, v0, v10
	s_waitcnt vmcnt(0)
	ds_bpermute_b32 v167, v0, v11
	ds_bpermute_b32 v168, v0, v12
	s_clause 0x3
	scratch_load_b64 v[5:6], v13, off offset:168
	scratch_load_b64 v[7:8], v13, off offset:184
	scratch_load_b64 v[9:10], v13, off offset:200
	scratch_load_b64 v[11:12], v13, off offset:216
	s_waitcnt vmcnt(3)
	ds_bpermute_b32 v177, v0, v5
	ds_bpermute_b32 v178, v0, v6
	s_waitcnt vmcnt(2)
	ds_bpermute_b32 v179, v0, v7
	ds_bpermute_b32 v180, v0, v8
	s_waitcnt vmcnt(1)
	ds_bpermute_b32 v173, v0, v9
	ds_bpermute_b32 v174, v0, v10
	s_waitcnt vmcnt(0)
	ds_bpermute_b32 v175, v0, v11
	;; [unrolled: 17-line block ×4, first 2 shown]
	ds_bpermute_b32 v162, v0, v12
	s_clause 0x3
	scratch_load_b64 v[5:6], v13, off offset:376
	scratch_load_b64 v[7:8], v13, off offset:392
	;; [unrolled: 1-line block ×4, first 2 shown]
	s_waitcnt vmcnt(3)
	ds_bpermute_b32 v163, v0, v5
	ds_bpermute_b32 v164, v0, v6
	s_waitcnt vmcnt(2)
	ds_bpermute_b32 v185, v0, v7
	ds_bpermute_b32 v186, v0, v8
	;; [unrolled: 3-line block ×3, first 2 shown]
	s_clause 0x3
	scratch_load_b64 v[5:6], v13, off offset:440
	scratch_load_b64 v[7:8], v13, off offset:456
	;; [unrolled: 1-line block ×4, first 2 shown]
	ds_bpermute_b32 v187, v0, v9
	ds_bpermute_b32 v188, v0, v10
	s_waitcnt vmcnt(3)
	ds_bpermute_b32 v183, v0, v5
	ds_bpermute_b32 v184, v0, v6
	s_waitcnt vmcnt(2)
	;; [unrolled: 3-line block ×4, first 2 shown]
	ds_bpermute_b32 v133, v0, v13
	ds_bpermute_b32 v134, v0, v14
	v_or_b32_e32 v0, 0x200, v15
	s_clause 0x1f
	scratch_load_b64 v[81:82], v0, off
	scratch_load_b64 v[83:84], v0, off offset:16
	scratch_load_b64 v[77:78], v0, off offset:32
	;; [unrolled: 1-line block ×31, first 2 shown]
	s_and_not1_b32 vcc_lo, exec_lo, s0
	s_cbranch_vccz .LBB29_3
	s_branch .LBB29_4
.LBB29_2:
	v_dual_mov_b32 v88, v74 :: v_dual_mov_b32 v87, v73
	v_dual_mov_b32 v86, v72 :: v_dual_mov_b32 v85, v71
                                        ; implicit-def: $vgpr135_vgpr136
                                        ; implicit-def: $vgpr11_vgpr12
                                        ; implicit-def: $vgpr183_vgpr184
                                        ; implicit-def: $vgpr187_vgpr188
                                        ; implicit-def: $vgpr163_vgpr164
                                        ; implicit-def: $vgpr171_vgpr172
                                        ; implicit-def: $vgpr151_vgpr152
                                        ; implicit-def: $vgpr155_vgpr156
                                        ; implicit-def: $vgpr143_vgpr144
                                        ; implicit-def: $vgpr175_vgpr176
                                        ; implicit-def: $vgpr179_vgpr180
                                        ; implicit-def: $vgpr167_vgpr168
                                        ; implicit-def: $vgpr139_vgpr140
                                        ; implicit-def: $vgpr159_vgpr160
                                        ; implicit-def: $vgpr131_vgpr132
                                        ; implicit-def: $vgpr147_vgpr148
                                        ; implicit-def: $vgpr15_vgpr16
                                        ; implicit-def: $vgpr7_vgpr8
                                        ; implicit-def: $vgpr35_vgpr36
                                        ; implicit-def: $vgpr43_vgpr44
                                        ; implicit-def: $vgpr31_vgpr32
                                        ; implicit-def: $vgpr39_vgpr40
                                        ; implicit-def: $vgpr47_vgpr48
                                        ; implicit-def: $vgpr51_vgpr52
                                        ; implicit-def: $vgpr55_vgpr56
                                        ; implicit-def: $vgpr59_vgpr60
                                        ; implicit-def: $vgpr63_vgpr64
                                        ; implicit-def: $vgpr67_vgpr68
                                        ; implicit-def: $vgpr71_vgpr72
                                        ; implicit-def: $vgpr75_vgpr76
                                        ; implicit-def: $vgpr79_vgpr80
                                        ; implicit-def: $vgpr83_vgpr84
.LBB29_3:
	s_clause 0x1
	scratch_store_b128 off, v[125:128], off
	scratch_store_b128 off, v[121:124], off offset:16
	s_clause 0x1
	scratch_load_b128 v[5:8], off, off offset:8
	scratch_load_b64 v[14:15], off, off offset:24
	s_clause 0x1
	scratch_store_b128 off, v[117:120], off offset:32
	scratch_store_b128 off, v[113:116], off offset:48
	s_waitcnt lgkmcnt(2)
	s_clause 0x1
	scratch_load_b128 v[10:13], off, off offset:40
	scratch_load_b64 v[54:55], off, off offset:56
	s_clause 0x1
	scratch_store_b128 off, v[101:104], off offset:64
	scratch_store_b128 off, v[97:100], off offset:80
	s_clause 0x1
	scratch_load_b128 v[30:33], off, off offset:72
	scratch_load_b64 v[56:57], off, off offset:88
	s_clause 0x1
	scratch_store_b128 off, v[93:96], off offset:96
	scratch_store_b128 off, v[89:92], off offset:112
	s_clause 0x1
	scratch_load_b128 v[34:37], off, off offset:104
	scratch_load_b64 v[58:59], off, off offset:120
	s_waitcnt vmcnt(8)
	s_clause 0x1
	scratch_store_b128 off, v[109:112], off offset:448
	scratch_store_b128 off, v[105:108], off offset:464
	s_clause 0x2
	scratch_load_b128 v[38:41], off, off offset:456
	scratch_load_b64 v[60:61], off, off offset:472
	scratch_load_b128 v[42:45], off, off offset:1280
	v_add_nc_u32_e32 v0, -1, v190
	v_and_b32_e32 v9, 3, v190
	v_mov_b32_dpp v16, v25 quad_perm:[2,3,0,1] row_mask:0xf bank_mask:0xf
	s_delay_alu instid0(VALU_DEP_3) | instskip(NEXT) | instid1(VALU_DEP_3)
	v_and_b32_e32 v0, 3, v0
	v_lshlrev_b32_e32 v29, 3, v9
	s_delay_alu instid0(VALU_DEP_2)
	v_lshlrev_b32_e32 v0, 3, v0
	s_waitcnt vmcnt(10)
	v_mov_b32_dpp v5, v5 quad_perm:[3,0,1,2] row_mask:0xf bank_mask:0xf
	v_mov_b32_dpp v6, v6 quad_perm:[3,0,1,2] row_mask:0xf bank_mask:0xf
	;; [unrolled: 1-line block ×4, first 2 shown]
	s_waitcnt vmcnt(9)
	v_mov_b32_dpp v14, v14 quad_perm:[1,2,3,0] row_mask:0xf bank_mask:0xf
	v_mov_b32_dpp v15, v15 quad_perm:[1,2,3,0] row_mask:0xf bank_mask:0xf
	s_waitcnt vmcnt(8)
	v_mov_b32_dpp v10, v10 quad_perm:[3,0,1,2] row_mask:0xf bank_mask:0xf
	v_mov_b32_dpp v11, v11 quad_perm:[3,0,1,2] row_mask:0xf bank_mask:0xf
	;; [unrolled: 1-line block ×3, first 2 shown]
	s_waitcnt vmcnt(0)
	scratch_store_b128 off, v[42:45], off offset:480
	scratch_load_b128 v[42:45], off, off offset:1264 ; 16-byte Folded Reload
	v_mov_b32_dpp v13, v13 quad_perm:[2,3,0,1] row_mask:0xf bank_mask:0xf
	v_mov_b32_dpp v54, v54 quad_perm:[1,2,3,0] row_mask:0xf bank_mask:0xf
	;; [unrolled: 1-line block ×21, first 2 shown]
	s_waitcnt vmcnt(0)
	scratch_store_b128 off, v[42:45], off offset:496
	s_clause 0x2
	scratch_load_b128 v[42:45], off, off offset:488
	scratch_load_b64 v[62:63], off, off offset:504
	scratch_load_b128 v[46:49], off, off offset:1248
	s_waitcnt vmcnt(2)
	v_mov_b32_dpp v42, v42 quad_perm:[3,0,1,2] row_mask:0xf bank_mask:0xf
	v_mov_b32_dpp v43, v43 quad_perm:[3,0,1,2] row_mask:0xf bank_mask:0xf
	s_waitcnt vmcnt(0)
	scratch_store_b128 off, v[46:49], off offset:128
	scratch_load_b128 v[46:49], off, off offset:1232 ; 16-byte Folded Reload
	v_mov_b32_dpp v44, v44 quad_perm:[2,3,0,1] row_mask:0xf bank_mask:0xf
	v_mov_b32_dpp v45, v45 quad_perm:[2,3,0,1] row_mask:0xf bank_mask:0xf
	;; [unrolled: 1-line block ×4, first 2 shown]
	s_waitcnt vmcnt(0)
	scratch_store_b128 off, v[46:49], off offset:144
	scratch_load_b128 v[46:49], off, off offset:1216 ; 16-byte Folded Reload
	s_waitcnt vmcnt(0)
	scratch_store_b128 off, v[46:49], off offset:160
	scratch_load_b128 v[46:49], off, off offset:1200 ; 16-byte Folded Reload
	s_waitcnt vmcnt(0)
	scratch_store_b128 off, v[46:49], off offset:176
	s_clause 0x3
	scratch_load_b128 v[46:49], off, off offset:136
	scratch_load_b64 v[64:65], off, off offset:152
	scratch_load_b128 v[50:53], off, off offset:168
	scratch_load_b64 v[66:67], off, off offset:184
	s_clause 0xb
	scratch_store_b128 off, v[5:8], off offset:8
	scratch_store_b64 off, v[14:15], off offset:24
	scratch_store_b128 off, v[10:13], off offset:40
	scratch_store_b64 off, v[54:55], off offset:56
	scratch_store_b128 off, v[30:33], off offset:72
	scratch_store_b64 off, v[56:57], off offset:88
	scratch_store_b128 off, v[34:37], off offset:104
	scratch_store_b64 off, v[58:59], off offset:120
	scratch_store_b128 off, v[38:41], off offset:456
	scratch_store_b64 off, v[60:61], off offset:472
	scratch_store_b128 off, v[42:45], off offset:488
	scratch_store_b64 off, v[62:63], off offset:504
	s_clause 0x5
	scratch_load_b64 v[5:6], v29, off offset:448
	scratch_load_b64 v[7:8], v29, off offset:480
	scratch_load_b64 v[10:11], v0, off
	scratch_load_b64 v[12:13], v0, off offset:32
	scratch_load_b64 v[30:31], v0, off offset:64
	;; [unrolled: 1-line block ×3, first 2 shown]
	scratch_load_b128 v[34:37], off, off offset:1184 ; 16-byte Folded Reload
	s_waitcnt vmcnt(10)
	v_mov_b32_dpp v42, v46 quad_perm:[3,0,1,2] row_mask:0xf bank_mask:0xf
	v_mov_b32_dpp v43, v47 quad_perm:[3,0,1,2] row_mask:0xf bank_mask:0xf
	;; [unrolled: 1-line block ×4, first 2 shown]
	s_waitcnt vmcnt(9)
	v_mov_b32_dpp v56, v64 quad_perm:[1,2,3,0] row_mask:0xf bank_mask:0xf
	s_waitcnt vmcnt(0)
	scratch_store_b128 off, v[34:37], off offset:192
	scratch_load_b128 v[34:37], off, off offset:1168 ; 16-byte Folded Reload
	v_mov_b32_dpp v57, v65 quad_perm:[1,2,3,0] row_mask:0xf bank_mask:0xf
	v_mov_b32_dpp v46, v50 quad_perm:[3,0,1,2] row_mask:0xf bank_mask:0xf
	;; [unrolled: 1-line block ×7, first 2 shown]
	s_waitcnt vmcnt(0)
	scratch_store_b128 off, v[34:37], off offset:208
	scratch_load_b128 v[34:37], off, off offset:1152 ; 16-byte Folded Reload
	s_waitcnt vmcnt(0)
	scratch_store_b128 off, v[34:37], off offset:224
	scratch_load_b128 v[34:37], off, off offset:1136 ; 16-byte Folded Reload
	s_waitcnt vmcnt(0)
	scratch_store_b128 off, v[34:37], off offset:240
	s_clause 0x3
	scratch_load_b128 v[34:37], off, off offset:200
	scratch_load_b64 v[14:15], off, off offset:216
	scratch_load_b128 v[38:41], off, off offset:232
	scratch_load_b64 v[54:55], off, off offset:248
	s_clause 0x6
	scratch_store_b128 off, v[42:45], off offset:136
	scratch_store_b64 off, v[56:57], off offset:152
	scratch_store_b128 off, v[46:49], off offset:168
	scratch_store_b64 off, v[50:51], off offset:184
	scratch_store_b128 off, v[5:8], off offset:624
	scratch_store_b128 off, v[10:13], off offset:640
	scratch_store_b128 off, v[30:33], off offset:656
	s_clause 0x1
	scratch_load_b128 v[49:52], off, off offset:632
	scratch_load_b128 v[5:8], off, off offset:648
	s_clause 0x1
	scratch_load_b64 v[10:11], v0, off offset:128
	scratch_load_b64 v[12:13], v0, off offset:160
	scratch_load_b128 v[30:33], off, off offset:1104 ; 16-byte Folded Reload
	s_waitcnt vmcnt(8)
	v_mov_b32_dpp v34, v34 quad_perm:[3,0,1,2] row_mask:0xf bank_mask:0xf
	v_mov_b32_dpp v35, v35 quad_perm:[3,0,1,2] row_mask:0xf bank_mask:0xf
	;; [unrolled: 1-line block ×4, first 2 shown]
	s_waitcnt vmcnt(7)
	v_mov_b32_dpp v14, v14 quad_perm:[1,2,3,0] row_mask:0xf bank_mask:0xf
	v_mov_b32_dpp v15, v15 quad_perm:[1,2,3,0] row_mask:0xf bank_mask:0xf
	s_waitcnt vmcnt(6)
	v_mov_b32_dpp v38, v38 quad_perm:[3,0,1,2] row_mask:0xf bank_mask:0xf
	s_waitcnt vmcnt(0)
	scratch_store_b128 off, v[30:33], off offset:256
	scratch_load_b128 v[30:33], off, off offset:1088 ; 16-byte Folded Reload
	v_mov_b32_dpp v39, v39 quad_perm:[3,0,1,2] row_mask:0xf bank_mask:0xf
	v_mov_b32_dpp v40, v40 quad_perm:[2,3,0,1] row_mask:0xf bank_mask:0xf
	v_mov_b32_dpp v41, v41 quad_perm:[2,3,0,1] row_mask:0xf bank_mask:0xf
	s_waitcnt vmcnt(0)
	scratch_store_b128 off, v[30:33], off offset:272
	scratch_load_b128 v[30:33], off, off offset:1072 ; 16-byte Folded Reload
	s_waitcnt vmcnt(0)
	s_clause 0x1
	scratch_store_b128 off, v[30:33], off offset:288
	scratch_store_b128 off, v[21:24], off offset:304
	scratch_load_b128 v[30:33], off, off offset:1120 ; 16-byte Folded Reload
	v_mov_b32_dpp v21, v54 quad_perm:[1,2,3,0] row_mask:0xf bank_mask:0xf
	v_mov_b32_dpp v22, v55 quad_perm:[1,2,3,0] row_mask:0xf bank_mask:0xf
	s_waitcnt vmcnt(0)
	s_clause 0x3
	scratch_store_b128 off, v[30:33], off offset:320
	scratch_store_b64 off, v[25:26], off offset:336
	scratch_store_b128 off, v[85:88], off offset:352
	scratch_store_b64 off, v[17:18], off offset:368
	s_clause 0x7
	scratch_load_b128 v[30:33], off, off offset:264
	scratch_load_b64 v[46:47], off, off offset:280
	scratch_load_b128 v[42:45], off, off offset:296
	scratch_load_b32 v18, off, off offset:316
	scratch_load_b64 v[56:57], off, off offset:328
	scratch_load_b32 v48, off, off offset:340
	scratch_load_b64 v[58:59], off, off offset:360
	scratch_load_b32 v53, off, off offset:372
	s_clause 0x3
	scratch_store_b128 off, v[34:37], off offset:200
	scratch_store_b64 off, v[14:15], off offset:216
	scratch_store_b128 off, v[38:41], off offset:232
	scratch_store_b64 off, v[21:22], off offset:248
	s_clause 0x1
	scratch_load_b64 v[34:35], v0, off offset:192
	scratch_load_b64 v[36:37], v0, off offset:224
	v_mov_b32_dpp v38, v51 quad_perm:[1,2,3,0] row_mask:0xf bank_mask:0xf
	v_mov_b32_dpp v39, v52 quad_perm:[1,2,3,0] row_mask:0xf bank_mask:0xf
	;; [unrolled: 1-line block ×4, first 2 shown]
	scratch_store_b128 off, v[10:13], off offset:672
	scratch_load_b128 v[10:13], off, off offset:664
	v_lshlrev_b32_e32 v14, 2, v190
	v_mov_b32_dpp v22, v17 quad_perm:[2,3,0,1] row_mask:0xf bank_mask:0xf
	scratch_store_b128 off, v[38:41], off offset:640
	scratch_load_b64 v[5:6], off, off offset:648
	v_mov_b32_dpp v40, v27 quad_perm:[1,2,3,0] row_mask:0xf bank_mask:0xf
	v_mov_b32_dpp v38, v23 quad_perm:[1,2,3,0] row_mask:0xf bank_mask:0xf
	;; [unrolled: 1-line block ×3, first 2 shown]
	v_xor_b32_e32 v19, 16, v14
	v_mov_b32_dpp v41, v28 quad_perm:[1,2,3,0] row_mask:0xf bank_mask:0xf
	v_mov_b32_dpp v52, v20 quad_perm:[1,2,3,0] row_mask:0xf bank_mask:0xf
	s_waitcnt vmcnt(11)
	v_mov_b32_dpp v24, v30 quad_perm:[3,0,1,2] row_mask:0xf bank_mask:0xf
	v_mov_b32_dpp v25, v31 quad_perm:[3,0,1,2] row_mask:0xf bank_mask:0xf
	;; [unrolled: 1-line block ×4, first 2 shown]
	s_waitcnt vmcnt(10)
	v_mov_b32_dpp v46, v46 quad_perm:[1,2,3,0] row_mask:0xf bank_mask:0xf
	v_mov_b32_dpp v47, v47 quad_perm:[1,2,3,0] row_mask:0xf bank_mask:0xf
	s_waitcnt vmcnt(9)
	v_mov_b32_dpp v30, v42 quad_perm:[3,0,1,2] row_mask:0xf bank_mask:0xf
	v_mov_b32_dpp v31, v43 quad_perm:[3,0,1,2] row_mask:0xf bank_mask:0xf
	;; [unrolled: 1-line block ×4, first 2 shown]
	s_waitcnt vmcnt(8)
	v_mov_b32_dpp v39, v18 quad_perm:[1,2,3,0] row_mask:0xf bank_mask:0xf
	s_waitcnt vmcnt(7)
	v_mov_b32_dpp v14, v56 quad_perm:[3,0,1,2] row_mask:0xf bank_mask:0xf
	v_mov_b32_dpp v15, v57 quad_perm:[3,0,1,2] row_mask:0xf bank_mask:0xf
	s_waitcnt vmcnt(6)
	v_mov_b32_dpp v17, v48 quad_perm:[2,3,0,1] row_mask:0xf bank_mask:0xf
	s_waitcnt vmcnt(5)
	v_mov_b32_dpp v20, v58 quad_perm:[3,0,1,2] row_mask:0xf bank_mask:0xf
	v_mov_b32_dpp v21, v59 quad_perm:[3,0,1,2] row_mask:0xf bank_mask:0xf
	s_waitcnt vmcnt(4)
	v_mov_b32_dpp v23, v53 quad_perm:[2,3,0,1] row_mask:0xf bank_mask:0xf
	s_clause 0x7
	scratch_store_b128 off, v[24:27], off offset:264
	scratch_store_b64 off, v[46:47], off offset:280
	scratch_store_b128 off, v[30:33], off offset:296
	scratch_store_b64 off, v[38:39], off offset:312
	;; [unrolled: 2-line block ×4, first 2 shown]
	v_mov_b32_dpp v24, v7 quad_perm:[1,2,3,0] row_mask:0xf bank_mask:0xf
	v_mov_b32_dpp v25, v8 quad_perm:[1,2,3,0] row_mask:0xf bank_mask:0xf
	s_waitcnt vmcnt(1)
	v_mov_b32_dpp v26, v10 quad_perm:[1,2,3,0] row_mask:0xf bank_mask:0xf
	v_mov_b32_dpp v27, v11 quad_perm:[1,2,3,0] row_mask:0xf bank_mask:0xf
	s_clause 0x3
	scratch_load_b64 v[14:15], v0, off offset:256
	scratch_load_b64 v[16:17], v0, off offset:288
	scratch_load_b64 v[20:21], v0, off offset:320
	scratch_load_b64 v[22:23], v0, off offset:352
	scratch_store_b128 off, v[34:37], off offset:688
	scratch_load_b128 v[30:33], off, off offset:680
	v_mov_b32_dpp v10, v12 quad_perm:[1,2,3,0] row_mask:0xf bank_mask:0xf
	scratch_store_b128 off, v[24:27], off offset:656
	s_clause 0x1
	scratch_load_b64 v[7:8], off, off offset:664
	scratch_load_b128 v[24:27], off, off offset:1056
	v_mov_b32_dpp v11, v13 quad_perm:[1,2,3,0] row_mask:0xf bank_mask:0xf
	s_waitcnt vmcnt(7)
	ds_bpermute_b32 v5, v19, v5
	ds_bpermute_b32 v6, v19, v6
	s_waitcnt vmcnt(0)
	s_clause 0x1
	scratch_store_b128 off, v[24:27], off offset:384
	scratch_store_b128 off, v[1:4], off offset:400
	s_clause 0x2
	scratch_load_b64 v[34:35], off, off offset:392
	scratch_load_b64 v[36:37], off, off offset:404
	scratch_load_b128 v[24:27], off, off offset:1040
	v_mov_b32_dpp v12, v30 quad_perm:[1,2,3,0] row_mask:0xf bank_mask:0xf
	v_mov_b32_dpp v13, v31 quad_perm:[1,2,3,0] row_mask:0xf bank_mask:0xf
	;; [unrolled: 1-line block ×3, first 2 shown]
	ds_bpermute_b32 v2, v19, v7
	ds_bpermute_b32 v3, v19, v8
	v_xor_b32_e32 v4, 2, v9
	s_delay_alu instid0(VALU_DEP_1)
	v_lshlrev_b32_e32 v28, 3, v4
	v_add_nc_u32_e32 v4, 3, v4
	s_waitcnt vmcnt(1)
	v_mov_b32_dpp v30, v37 quad_perm:[1,2,3,0] row_mask:0xf bank_mask:0xf
	s_waitcnt vmcnt(0)
	scratch_store_b128 off, v[24:27], off offset:416
	scratch_load_b128 v[24:27], off, off offset:1024 ; 16-byte Folded Reload
	s_waitcnt vmcnt(0)
	scratch_store_b128 off, v[24:27], off offset:432
	s_clause 0x1
	scratch_load_b128 v[24:27], off, off offset:424
	scratch_load_b64 v[38:39], off, off offset:440
	s_clause 0x1
	scratch_store_b128 off, v[14:17], off offset:704
	scratch_store_b128 off, v[10:13], off offset:672
	s_clause 0x1
	scratch_load_b128 v[14:17], off, off offset:696
	scratch_load_b64 v[7:8], off, off offset:680
	v_mov_b32_dpp v12, v1 quad_perm:[2,3,0,1] row_mask:0xf bank_mask:0xf
	v_mov_b32_dpp v10, v34 quad_perm:[3,0,1,2] row_mask:0xf bank_mask:0xf
	;; [unrolled: 1-line block ×4, first 2 shown]
	s_waitcnt vmcnt(3)
	v_mov_b32_dpp v24, v24 quad_perm:[3,0,1,2] row_mask:0xf bank_mask:0xf
	v_mov_b32_dpp v25, v25 quad_perm:[3,0,1,2] row_mask:0xf bank_mask:0xf
	;; [unrolled: 1-line block ×4, first 2 shown]
	s_waitcnt vmcnt(2)
	v_mov_b32_dpp v34, v38 quad_perm:[1,2,3,0] row_mask:0xf bank_mask:0xf
	v_mov_b32_dpp v35, v39 quad_perm:[1,2,3,0] row_mask:0xf bank_mask:0xf
	s_clause 0x3
	scratch_store_b128 off, v[10:13], off offset:392
	scratch_store_b64 off, v[30:31], off offset:408
	scratch_store_b128 off, v[24:27], off offset:424
	scratch_store_b64 off, v[34:35], off offset:440
	s_clause 0x3
	scratch_load_b64 v[10:11], v0, off offset:384
	scratch_load_b64 v[12:13], v0, off offset:416
	;; [unrolled: 1-line block ×4, first 2 shown]
	v_mov_b32_dpp v30, v32 quad_perm:[1,2,3,0] row_mask:0xf bank_mask:0xf
	v_mov_b32_dpp v31, v33 quad_perm:[1,2,3,0] row_mask:0xf bank_mask:0xf
	s_waitcnt vmcnt(5)
	v_mov_b32_dpp v32, v14 quad_perm:[1,2,3,0] row_mask:0xf bank_mask:0xf
	v_mov_b32_dpp v33, v15 quad_perm:[1,2,3,0] row_mask:0xf bank_mask:0xf
	scratch_store_b128 off, v[20:23], off offset:720
	scratch_load_b128 v[20:23], off, off offset:712
	s_waitcnt vmcnt(5)
	ds_bpermute_b32 v0, v19, v7
	ds_bpermute_b32 v1, v19, v8
	scratch_store_b128 off, v[30:33], off offset:688
	scratch_load_b64 v[7:8], off, off offset:696
	v_mov_b32_dpp v14, v16 quad_perm:[1,2,3,0] row_mask:0xf bank_mask:0xf
	v_mov_b32_dpp v15, v17 quad_perm:[1,2,3,0] row_mask:0xf bank_mask:0xf
	s_waitcnt vmcnt(1)
	v_mov_b32_dpp v16, v20 quad_perm:[1,2,3,0] row_mask:0xf bank_mask:0xf
	v_mov_b32_dpp v17, v21 quad_perm:[1,2,3,0] row_mask:0xf bank_mask:0xf
	scratch_store_b128 off, v[10:13], off offset:736
	scratch_load_b128 v[10:13], off, off offset:728
	v_mov_b32_dpp v20, v22 quad_perm:[1,2,3,0] row_mask:0xf bank_mask:0xf
	v_mov_b32_dpp v21, v23 quad_perm:[1,2,3,0] row_mask:0xf bank_mask:0xf
	scratch_store_b128 off, v[14:17], off offset:704
	scratch_load_b64 v[34:35], off, off offset:712
	s_clause 0x3
	scratch_load_b64 v[14:15], v28, off
	scratch_load_b64 v[16:17], v28, off offset:32
	scratch_load_b64 v[30:31], v28, off offset:64
	;; [unrolled: 1-line block ×3, first 2 shown]
	s_waitcnt vmcnt(6)
	ds_bpermute_b32 v7, v19, v7
	ds_bpermute_b32 v8, v19, v8
	s_waitcnt vmcnt(5)
	v_mov_b32_dpp v22, v10 quad_perm:[1,2,3,0] row_mask:0xf bank_mask:0xf
	v_mov_b32_dpp v23, v11 quad_perm:[1,2,3,0] row_mask:0xf bank_mask:0xf
	scratch_store_b128 off, v[24:27], off offset:752
	scratch_load_b128 v[24:27], off, off offset:744
	s_waitcnt vmcnt(5)
	ds_bpermute_b32 v9, v19, v34
	ds_bpermute_b32 v10, v19, v35
	scratch_store_b128 off, v[20:23], off offset:720
	scratch_load_b64 v[34:35], off, off offset:728
	v_mov_b32_dpp v20, v12 quad_perm:[1,2,3,0] row_mask:0xf bank_mask:0xf
	v_mov_b32_dpp v21, v13 quad_perm:[1,2,3,0] row_mask:0xf bank_mask:0xf
	s_waitcnt vmcnt(1)
	v_mov_b32_dpp v22, v24 quad_perm:[1,2,3,0] row_mask:0xf bank_mask:0xf
	v_mov_b32_dpp v23, v25 quad_perm:[1,2,3,0] row_mask:0xf bank_mask:0xf
	scratch_store_b128 off, v[14:17], off offset:768
	scratch_load_b128 v[13:16], off, off offset:760
	s_waitcnt vmcnt(1)
	ds_bpermute_b32 v11, v19, v34
	ds_bpermute_b32 v12, v19, v35
	scratch_store_b128 off, v[20:23], off offset:736
	scratch_load_b64 v[17:18], off, off offset:744
	s_clause 0x3
	scratch_load_b64 v[20:21], v28, off offset:128
	scratch_load_b64 v[22:23], v28, off offset:160
	;; [unrolled: 1-line block ×4, first 2 shown]
	v_mov_b32_dpp v24, v26 quad_perm:[1,2,3,0] row_mask:0xf bank_mask:0xf
	v_mov_b32_dpp v25, v27 quad_perm:[1,2,3,0] row_mask:0xf bank_mask:0xf
	s_waitcnt vmcnt(5)
	v_mov_b32_dpp v26, v13 quad_perm:[1,2,3,0] row_mask:0xf bank_mask:0xf
	v_mov_b32_dpp v27, v14 quad_perm:[1,2,3,0] row_mask:0xf bank_mask:0xf
	scratch_store_b128 off, v[30:33], off offset:784
	scratch_load_b128 v[30:33], off, off offset:776
	s_waitcnt vmcnt(5)
	ds_bpermute_b32 v13, v19, v17
	ds_bpermute_b32 v14, v19, v18
	scratch_store_b128 off, v[24:27], off offset:752
	scratch_load_b64 v[17:18], off, off offset:760
	v_mov_b32_dpp v24, v15 quad_perm:[2,3,0,1] row_mask:0xf bank_mask:0xf
	v_mov_b32_dpp v25, v16 quad_perm:[2,3,0,1] row_mask:0xf bank_mask:0xf
	s_waitcnt vmcnt(1)
	v_mov_b32_dpp v26, v30 quad_perm:[2,3,0,1] row_mask:0xf bank_mask:0xf
	v_mov_b32_dpp v27, v31 quad_perm:[2,3,0,1] row_mask:0xf bank_mask:0xf
	scratch_store_b128 off, v[20:23], off offset:800
	scratch_load_b128 v[20:23], off, off offset:792
	s_waitcnt vmcnt(1)
	ds_bpermute_b32 v15, v19, v17
	ds_bpermute_b32 v16, v19, v18
	scratch_store_b128 off, v[24:27], off offset:768
	scratch_load_b64 v[17:18], off, off offset:776
	s_clause 0x3
	scratch_load_b64 v[24:25], v28, off offset:256
	scratch_load_b64 v[26:27], v28, off offset:288
	;; [unrolled: 1-line block ×4, first 2 shown]
	v_mov_b32_dpp v30, v32 quad_perm:[2,3,0,1] row_mask:0xf bank_mask:0xf
	v_mov_b32_dpp v31, v33 quad_perm:[2,3,0,1] row_mask:0xf bank_mask:0xf
	s_waitcnt vmcnt(5)
	v_mov_b32_dpp v32, v20 quad_perm:[2,3,0,1] row_mask:0xf bank_mask:0xf
	v_mov_b32_dpp v33, v21 quad_perm:[2,3,0,1] row_mask:0xf bank_mask:0xf
	scratch_store_b128 off, v[34:37], off offset:816
	scratch_load_b128 v[34:37], off, off offset:808
	v_mov_b32_dpp v20, v22 quad_perm:[2,3,0,1] row_mask:0xf bank_mask:0xf
	v_mov_b32_dpp v21, v23 quad_perm:[2,3,0,1] row_mask:0xf bank_mask:0xf
	scratch_store_b128 off, v[30:33], off offset:784
	scratch_load_b64 v[30:31], off, off offset:792
	s_waitcnt vmcnt(6)
	ds_bpermute_b32 v17, v19, v17
	ds_bpermute_b32 v18, v19, v18
	s_waitcnt vmcnt(1)
	v_mov_b32_dpp v22, v34 quad_perm:[2,3,0,1] row_mask:0xf bank_mask:0xf
	v_mov_b32_dpp v23, v35 quad_perm:[2,3,0,1] row_mask:0xf bank_mask:0xf
	scratch_store_b128 off, v[24:27], off offset:832
	scratch_load_b128 v[24:27], off, off offset:824
	s_waitcnt vmcnt(1)
	ds_bpermute_b32 v46, v19, v30
	ds_bpermute_b32 v47, v19, v31
	scratch_store_b128 off, v[20:23], off offset:800
	scratch_load_b64 v[42:43], off, off offset:808
	v_and_b32_e32 v20, 3, v4
	v_lshlrev_b32_e32 v4, 3, v4
	v_mov_b32_dpp v31, v37 quad_perm:[2,3,0,1] row_mask:0xf bank_mask:0xf
	s_delay_alu instid0(VALU_DEP_3) | instskip(NEXT) | instid1(VALU_DEP_3)
	v_lshlrev_b32_e32 v48, 3, v20
	v_or_b32_e32 v30, 32, v4
	s_clause 0x5
	scratch_load_b64 v[20:21], v28, off offset:384
	scratch_load_b64 v[22:23], v28, off offset:416
	scratch_load_b64 v[67:68], v48, off
	scratch_load_b64 v[69:70], v30, off
	scratch_load_b64 v[75:76], v28, off offset:448
	scratch_load_b64 v[77:78], v28, off offset:480
	v_mov_b32_dpp v30, v36 quad_perm:[2,3,0,1] row_mask:0xf bank_mask:0xf
	s_waitcnt vmcnt(7)
	v_mov_b32_dpp v32, v24 quad_perm:[2,3,0,1] row_mask:0xf bank_mask:0xf
	v_mov_b32_dpp v33, v25 quad_perm:[2,3,0,1] row_mask:0xf bank_mask:0xf
	v_or_b32_e32 v24, 0x60, v4
	v_or_b32_e32 v25, 0xa0, v4
	scratch_store_b128 off, v[38:41], off offset:848
	scratch_load_b128 v[34:37], off, off offset:840
	scratch_store_b128 off, v[30:33], off offset:816
	s_waitcnt vmcnt(7)
	ds_bpermute_b32 v79, v19, v42
	ds_bpermute_b32 v80, v19, v43
	scratch_load_b64 v[81:82], off, off offset:824
	s_clause 0x10
	scratch_load_b64 v[30:31], v29, off offset:384
	scratch_load_b64 v[32:33], v29, off offset:416
	scratch_load_b64 v[38:39], v29, off
	scratch_load_b64 v[40:41], v29, off offset:32
	scratch_load_b64 v[42:43], v29, off offset:64
	;; [unrolled: 1-line block ×12, first 2 shown]
	scratch_load_b64 v[83:84], v24, off
	scratch_load_b64 v[85:86], v48, off offset:128
	v_or_b32_e32 v24, 0xe0, v4
	s_clause 0x1
	scratch_load_b64 v[87:88], v25, off
	scratch_load_b64 v[89:90], v48, off offset:192
	v_or_b32_e32 v25, 0x120, v4
	s_clause 0x1
	;; [unrolled: 4-line block ×3, first 2 shown]
	scratch_load_b64 v[95:96], v25, off
	scratch_load_b64 v[97:98], v48, off offset:320
	scratch_load_b64 v[99:100], v24, off
	v_or_b32_e32 v24, 0x1a0, v4
	v_or_b32_e32 v4, 0x1e0, v4
	s_clause 0x3
	scratch_load_b64 v[101:102], v48, off offset:384
	scratch_load_b64 v[103:104], v24, off
	scratch_load_b64 v[105:106], v48, off offset:448
	scratch_load_b64 v[107:108], v4, off
	s_waitcnt vmcnt(34)
	scratch_store_b128 off, v[20:23], off offset:864
	s_waitcnt vmcnt(30)
	scratch_store_b64 off, v[77:78], off offset:888
	s_clause 0x2
	scratch_load_b32 v4, off, off offset:876
	scratch_load_b32 v20, off, off offset:892
	scratch_load_b128 v[71:74], off, off offset:856
	v_mov_b32_dpp v23, v26 quad_perm:[2,3,0,1] row_mask:0xf bank_mask:0xf
	v_mov_b32_dpp v24, v27 quad_perm:[2,3,0,1] row_mask:0xf bank_mask:0xf
	;; [unrolled: 1-line block ×7, first 2 shown]
	ds_bpermute_b32 v48, v19, v49
	ds_bpermute_b32 v49, v19, v50
	s_waitcnt vmcnt(32)
	v_mov_b32_dpp v25, v34 quad_perm:[2,3,0,1] row_mask:0xf bank_mask:0xf
	v_mov_b32_dpp v26, v35 quad_perm:[2,3,0,1] row_mask:0xf bank_mask:0xf
	s_waitcnt vmcnt(31)
	ds_bpermute_b32 v81, v19, v81
	ds_bpermute_b32 v82, v19, v82
	scratch_store_b128 off, v[23:26], off offset:832
	scratch_load_b64 v[109:110], off, off offset:840
	s_waitcnt vmcnt(17)
	v_mov_b32_dpp v23, v28 quad_perm:[3,0,1,2] row_mask:0xf bank_mask:0xf
	v_mov_b32_dpp v24, v29 quad_perm:[3,0,1,2] row_mask:0xf bank_mask:0xf
	s_waitcnt vmcnt(16)
	v_mov_b32_dpp v25, v83 quad_perm:[3,0,1,2] row_mask:0xf bank_mask:0xf
	v_mov_b32_dpp v26, v84 quad_perm:[3,0,1,2] row_mask:0xf bank_mask:0xf
	s_clause 0x6
	scratch_store_b128 off, v[30:33], off offset:608
	scratch_store_b128 off, v[38:41], off offset:512
	;; [unrolled: 1-line block ×7, first 2 shown]
	s_waitcnt vmcnt(15)
	v_mov_b32_dpp v27, v85 quad_perm:[3,0,1,2] row_mask:0xf bank_mask:0xf
	v_mov_b32_dpp v28, v86 quad_perm:[3,0,1,2] row_mask:0xf bank_mask:0xf
	s_waitcnt vmcnt(14)
	v_mov_b32_dpp v29, v87 quad_perm:[3,0,1,2] row_mask:0xf bank_mask:0xf
	v_mov_b32_dpp v30, v88 quad_perm:[3,0,1,2] row_mask:0xf bank_mask:0xf
	;; [unrolled: 3-line block ×8, first 2 shown]
	s_clause 0x3
	scratch_load_b64 v[59:60], off, off offset:520
	scratch_load_b64 v[61:62], off, off offset:536
	;; [unrolled: 1-line block ×4, first 2 shown]
	s_waitcnt vmcnt(11)
	v_mov_b32_dpp v51, v101 quad_perm:[3,0,1,2] row_mask:0xf bank_mask:0xf
	v_mov_b32_dpp v52, v102 quad_perm:[3,0,1,2] row_mask:0xf bank_mask:0xf
	s_waitcnt vmcnt(10)
	v_mov_b32_dpp v53, v103 quad_perm:[3,0,1,2] row_mask:0xf bank_mask:0xf
	v_mov_b32_dpp v54, v104 quad_perm:[3,0,1,2] row_mask:0xf bank_mask:0xf
	s_clause 0x1
	scratch_store_b128 off, v[23:26], off offset:912
	scratch_store_b128 off, v[27:30], off offset:928
	s_waitcnt vmcnt(9)
	v_mov_b32_dpp v55, v105 quad_perm:[3,0,1,2] row_mask:0xf bank_mask:0xf
	v_mov_b32_dpp v56, v106 quad_perm:[3,0,1,2] row_mask:0xf bank_mask:0xf
	s_waitcnt vmcnt(8)
	v_mov_b32_dpp v57, v107 quad_perm:[3,0,1,2] row_mask:0xf bank_mask:0xf
	v_mov_b32_dpp v58, v108 quad_perm:[3,0,1,2] row_mask:0xf bank_mask:0xf
	s_clause 0x1
	scratch_load_b64 v[89:90], off, off offset:920
	scratch_load_b64 v[91:92], off, off offset:936
	s_clause 0x1
	scratch_store_b128 off, v[31:34], off offset:944
	scratch_store_b128 off, v[38:41], off offset:960
	s_clause 0x4
	scratch_load_b64 v[32:33], off, off offset:952
	scratch_load_b64 v[34:35], off, off offset:968
	;; [unrolled: 1-line block ×5, first 2 shown]
	s_clause 0x1
	scratch_store_b128 off, v[42:45], off offset:976
	scratch_store_b128 off, v[51:54], off offset:992
	s_clause 0x1
	scratch_load_b64 v[38:39], off, off offset:984
	scratch_load_b64 v[40:41], off, off offset:1000
	scratch_store_b128 off, v[55:58], off offset:1008
	scratch_load_b64 v[42:43], off, off offset:1016
	v_mov_b32_dpp v28, v36 quad_perm:[2,3,0,1] row_mask:0xf bank_mask:0xf
	v_mov_b32_dpp v29, v37 quad_perm:[2,3,0,1] row_mask:0xf bank_mask:0xf
	s_waitcnt vmcnt(15)
	v_mov_b32_dpp v30, v71 quad_perm:[2,3,0,1] row_mask:0xf bank_mask:0xf
	v_mov_b32_dpp v31, v72 quad_perm:[2,3,0,1] row_mask:0xf bank_mask:0xf
	;; [unrolled: 1-line block ×9, first 2 shown]
	s_clause 0x1
	scratch_store_b128 off, v[28:31], off offset:848
	scratch_store_b128 off, v[20:23], off offset:864
	s_clause 0x1
	scratch_load_b64 v[28:29], off, off offset:856
	scratch_load_b64 v[20:21], off, off offset:872
	s_clause 0x1
	scratch_store_b128 off, v[24:27], off offset:880
	scratch_store_b128 off, v[67:70], off offset:896
	s_clause 0x1
	scratch_load_b64 v[22:23], off, off offset:888
	scratch_load_b64 v[24:25], off, off offset:904
	v_bfe_u32 v4, v190, 2, 1
	s_delay_alu instid0(VALU_DEP_1)
	v_xor_b32_e32 v26, 1, v4
	v_xor_b32_e32 v27, 3, v4
	;; [unrolled: 1-line block ×3, first 2 shown]
	v_lshlrev_b32_e32 v67, 3, v4
	v_xor_b32_e32 v68, 15, v4
	v_lshl_or_b32 v70, v26, 3, 0x200
	v_lshlrev_b32_e32 v71, 3, v27
	v_lshlrev_b32_e32 v72, 3, v30
	v_xor_b32_e32 v69, 31, v4
	v_xor_b32_e32 v4, 63, v4
	v_sub_nc_u32_e32 v129, 0x200, v67
	v_lshlrev_b32_e32 v50, 3, v68
	s_waitcnt vmcnt(18)
	ds_bpermute_b32 v36, v19, v109
	ds_bpermute_b32 v37, v19, v110
	s_waitcnt vmcnt(17)
	ds_bpermute_b32 v26, v19, v59
	ds_bpermute_b32 v27, v19, v60
	;; [unrolled: 3-line block ×5, first 2 shown]
	v_lshlrev_b32_e32 v64, 3, v4
	v_lshlrev_b32_e32 v63, 3, v69
	s_waitcnt vmcnt(13)
	ds_bpermute_b32 v59, v19, v89
	ds_bpermute_b32 v60, v19, v90
	s_waitcnt vmcnt(12)
	ds_bpermute_b32 v61, v19, v91
	ds_bpermute_b32 v62, v19, v92
	;; [unrolled: 3-line block ×4, first 2 shown]
	ds_bpermute_b32 v34, v19, v34
	ds_bpermute_b32 v35, v19, v35
	s_waitcnt vmcnt(8)
	ds_bpermute_b32 v55, v19, v85
	ds_bpermute_b32 v56, v19, v86
	s_waitcnt vmcnt(6)
	ds_bpermute_b32 v38, v19, v38
	ds_bpermute_b32 v39, v19, v39
	;; [unrolled: 1-line block ×4, first 2 shown]
	s_waitcnt vmcnt(5)
	ds_bpermute_b32 v40, v19, v40
	ds_bpermute_b32 v41, v19, v41
	s_waitcnt vmcnt(4)
	ds_bpermute_b32 v42, v19, v42
	ds_bpermute_b32 v43, v19, v43
	s_waitcnt lgkmcnt(26)
	scratch_store_b64 off, v[26:27], off offset:520
	s_waitcnt lgkmcnt(24)
	scratch_store_b64 off, v[30:31], off offset:536
	;; [unrolled: 2-line block ×6, first 2 shown]
	s_waitcnt lgkmcnt(4)
	s_clause 0x1
	scratch_store_b64 off, v[57:58], off offset:616
	scratch_store_b64 off, v[48:49], off offset:632
	s_clause 0x1
	scratch_load_b64 v[26:27], v70, off
	scratch_load_b64 v[85:86], v71, off offset:512
	s_clause 0x4
	scratch_store_b64 off, v[59:60], off offset:920
	scratch_store_b64 off, v[61:62], off offset:936
	;; [unrolled: 1-line block ×5, first 2 shown]
	s_waitcnt lgkmcnt(2)
	scratch_store_b64 off, v[40:41], off offset:1000
	s_waitcnt lgkmcnt(0)
	s_clause 0x1
	scratch_store_b64 off, v[42:43], off offset:1016
	scratch_store_b64 off, v[5:6], off offset:648
	s_waitcnt vmcnt(5)
	ds_bpermute_b32 v4, v19, v28
	ds_bpermute_b32 v5, v19, v29
	s_waitcnt vmcnt(4)
	ds_bpermute_b32 v20, v19, v20
	ds_bpermute_b32 v21, v19, v21
	;; [unrolled: 3-line block ×4, first 2 shown]
	s_clause 0x6
	scratch_store_b64 off, v[2:3], off offset:664
	scratch_store_b64 off, v[0:1], off offset:680
	;; [unrolled: 1-line block ×7, first 2 shown]
	s_clause 0x3
	scratch_load_b64 v[0:1], v72, off offset:512
	scratch_load_b64 v[2:3], v50, off offset:512
	;; [unrolled: 1-line block ×4, first 2 shown]
	s_clause 0x4
	scratch_store_b64 off, v[17:18], off offset:776
	scratch_store_b64 off, v[46:47], off offset:792
	scratch_store_b64 off, v[79:80], off offset:808
	scratch_store_b64 off, v[81:82], off offset:824
	scratch_store_b64 off, v[36:37], off offset:840
	s_waitcnt lgkmcnt(6)
	scratch_store_b64 off, v[4:5], off offset:856
	s_waitcnt lgkmcnt(4)
	scratch_store_b64 off, v[20:21], off offset:872
	;; [unrolled: 2-line block ×4, first 2 shown]
	s_clause 0xe
	scratch_load_b64 v[11:12], v129, off offset:40
	scratch_load_b64 v[17:18], v129, off offset:72
	;; [unrolled: 1-line block ×15, first 2 shown]
	v_or_b32_e32 v4, 0x200, v67
	s_clause 0x1f
	scratch_load_b64 v[109:110], v129, off offset:328
	scratch_load_b64 v[111:112], v129, off offset:344
	;; [unrolled: 1-line block ×4, first 2 shown]
	scratch_load_b64 v[81:82], v4, off
	scratch_load_b64 v[83:84], v4, off offset:16
	scratch_load_b64 v[77:78], v4, off offset:32
	;; [unrolled: 1-line block ×27, first 2 shown]
	s_clause 0xa
	scratch_load_b64 v[51:52], v4, off offset:272
	scratch_load_b64 v[45:46], v4, off offset:288
	;; [unrolled: 1-line block ×11, first 2 shown]
	s_waitcnt vmcnt(42)
	ds_bpermute_b32 v169, v19, v109
	ds_bpermute_b32 v170, v19, v110
	s_waitcnt vmcnt(41)
	ds_bpermute_b32 v171, v19, v111
	ds_bpermute_b32 v172, v19, v112
	;; [unrolled: 3-line block ×8, first 2 shown]
	ds_bpermute_b32 v146, v19, v27
	ds_bpermute_b32 v147, v19, v85
	;; [unrolled: 1-line block ×4, first 2 shown]
	s_waitcnt vmcnt(24)
	ds_bpermute_b32 v133, v19, v133
	ds_bpermute_b32 v134, v19, v134
	;; [unrolled: 1-line block ×44, first 2 shown]
.LBB29_4:
	v_lshlrev_b32_e32 v0, 3, v189
	s_waitcnt vmcnt(30)
	global_store_b128 v0, v[81:84], s[6:7]
	s_waitcnt vmcnt(28)
	global_store_b128 v0, v[77:80], s[6:7] offset:16
	s_waitcnt vmcnt(26)
	global_store_b128 v0, v[73:76], s[6:7] offset:32
	;; [unrolled: 2-line block ×12, first 2 shown]
	s_waitcnt vmcnt(0)
	s_clause 0x2
	global_store_b128 v0, v[33:36], s[6:7] offset:208
	global_store_b128 v0, v[5:8], s[6:7] offset:224
	;; [unrolled: 1-line block ×3, first 2 shown]
	s_waitcnt lgkmcnt(45)
	global_store_b128 v0, v[145:148], s[6:7] offset:256
	s_waitcnt lgkmcnt(33)
	global_store_b128 v0, v[129:132], s[6:7] offset:272
	;; [unrolled: 2-line block ×9, first 2 shown]
	s_waitcnt lgkmcnt(5)
	s_clause 0x4
	global_store_b128 v0, v[149:152], s[6:7] offset:400
	global_store_b128 v0, v[169:172], s[6:7] offset:416
	;; [unrolled: 1-line block ×5, first 2 shown]
	s_waitcnt lgkmcnt(1)
	global_store_b128 v0, v[9:12], s[6:7] offset:480
	s_waitcnt lgkmcnt(0)
	global_store_b128 v0, v[133:136], s[6:7] offset:496
	s_endpgm
	.section	.rodata,"a",@progbits
	.p2align	6, 0x0
	.amdhsa_kernel _Z20warp_exchange_kernelILj64ELj8EN6common25BlockedToStripedShuffleOpElEvPT2_S3_b
		.amdhsa_group_segment_fixed_size 0
		.amdhsa_private_segment_fixed_size 1312
		.amdhsa_kernarg_size 20
		.amdhsa_user_sgpr_count 15
		.amdhsa_user_sgpr_dispatch_ptr 0
		.amdhsa_user_sgpr_queue_ptr 0
		.amdhsa_user_sgpr_kernarg_segment_ptr 1
		.amdhsa_user_sgpr_dispatch_id 0
		.amdhsa_user_sgpr_private_segment_size 0
		.amdhsa_wavefront_size32 1
		.amdhsa_uses_dynamic_stack 0
		.amdhsa_enable_private_segment 1
		.amdhsa_system_sgpr_workgroup_id_x 1
		.amdhsa_system_sgpr_workgroup_id_y 0
		.amdhsa_system_sgpr_workgroup_id_z 0
		.amdhsa_system_sgpr_workgroup_info 0
		.amdhsa_system_vgpr_workitem_id 0
		.amdhsa_next_free_vgpr 191
		.amdhsa_next_free_sgpr 8
		.amdhsa_reserve_vcc 1
		.amdhsa_float_round_mode_32 0
		.amdhsa_float_round_mode_16_64 0
		.amdhsa_float_denorm_mode_32 3
		.amdhsa_float_denorm_mode_16_64 3
		.amdhsa_dx10_clamp 1
		.amdhsa_ieee_mode 1
		.amdhsa_fp16_overflow 0
		.amdhsa_workgroup_processor_mode 1
		.amdhsa_memory_ordered 1
		.amdhsa_forward_progress 0
		.amdhsa_shared_vgpr_count 0
		.amdhsa_exception_fp_ieee_invalid_op 0
		.amdhsa_exception_fp_denorm_src 0
		.amdhsa_exception_fp_ieee_div_zero 0
		.amdhsa_exception_fp_ieee_overflow 0
		.amdhsa_exception_fp_ieee_underflow 0
		.amdhsa_exception_fp_ieee_inexact 0
		.amdhsa_exception_int_div_zero 0
	.end_amdhsa_kernel
	.section	.text._Z20warp_exchange_kernelILj64ELj8EN6common25BlockedToStripedShuffleOpElEvPT2_S3_b,"axG",@progbits,_Z20warp_exchange_kernelILj64ELj8EN6common25BlockedToStripedShuffleOpElEvPT2_S3_b,comdat
.Lfunc_end29:
	.size	_Z20warp_exchange_kernelILj64ELj8EN6common25BlockedToStripedShuffleOpElEvPT2_S3_b, .Lfunc_end29-_Z20warp_exchange_kernelILj64ELj8EN6common25BlockedToStripedShuffleOpElEvPT2_S3_b
                                        ; -- End function
	.section	.AMDGPU.csdata,"",@progbits
; Kernel info:
; codeLenInByte = 13848
; NumSgprs: 10
; NumVgprs: 191
; ScratchSize: 1312
; MemoryBound: 1
; FloatMode: 240
; IeeeMode: 1
; LDSByteSize: 0 bytes/workgroup (compile time only)
; SGPRBlocks: 1
; VGPRBlocks: 23
; NumSGPRsForWavesPerEU: 10
; NumVGPRsForWavesPerEU: 191
; Occupancy: 8
; WaveLimiterHint : 1
; COMPUTE_PGM_RSRC2:SCRATCH_EN: 1
; COMPUTE_PGM_RSRC2:USER_SGPR: 15
; COMPUTE_PGM_RSRC2:TRAP_HANDLER: 0
; COMPUTE_PGM_RSRC2:TGID_X_EN: 1
; COMPUTE_PGM_RSRC2:TGID_Y_EN: 0
; COMPUTE_PGM_RSRC2:TGID_Z_EN: 0
; COMPUTE_PGM_RSRC2:TIDIG_COMP_CNT: 0
	.section	.text._Z20warp_exchange_kernelILj32ELj8EN6common25BlockedToStripedShuffleOpEiEvPT2_S3_b,"axG",@progbits,_Z20warp_exchange_kernelILj32ELj8EN6common25BlockedToStripedShuffleOpEiEvPT2_S3_b,comdat
	.protected	_Z20warp_exchange_kernelILj32ELj8EN6common25BlockedToStripedShuffleOpEiEvPT2_S3_b ; -- Begin function _Z20warp_exchange_kernelILj32ELj8EN6common25BlockedToStripedShuffleOpEiEvPT2_S3_b
	.globl	_Z20warp_exchange_kernelILj32ELj8EN6common25BlockedToStripedShuffleOpEiEvPT2_S3_b
	.p2align	8
	.type	_Z20warp_exchange_kernelILj32ELj8EN6common25BlockedToStripedShuffleOpEiEvPT2_S3_b,@function
_Z20warp_exchange_kernelILj32ELj8EN6common25BlockedToStripedShuffleOpEiEvPT2_S3_b: ; @_Z20warp_exchange_kernelILj32ELj8EN6common25BlockedToStripedShuffleOpEiEvPT2_S3_b
; %bb.0:
	s_load_b128 s[4:7], s[0:1], 0x0
	v_lshlrev_b32_e32 v1, 7, v0
	s_load_b32 s0, s[0:1], 0x10
	v_lshlrev_b32_e32 v0, 5, v0
	v_mbcnt_lo_u32_b32 v65, -1, 0
	s_waitcnt lgkmcnt(0)
	s_clause 0x7
	global_load_b128 v[29:32], v1, s[4:5]
	global_load_b128 v[25:28], v1, s[4:5] offset:16
	global_load_b128 v[21:24], v1, s[4:5] offset:32
	;; [unrolled: 1-line block ×7, first 2 shown]
	s_bitcmp0_b32 s0, 0
	s_mov_b32 s0, 0
	s_cbranch_scc0 .LBB30_2
; %bb.1:
	s_waitcnt vmcnt(7)
	v_mov_b32_dpp v34, v30 quad_perm:[3,0,1,2] row_mask:0xf bank_mask:0xf
	v_mov_b32_dpp v35, v31 quad_perm:[2,3,0,1] row_mask:0xf bank_mask:0xf
	;; [unrolled: 1-line block ×3, first 2 shown]
	v_dual_mov_b32 v33, v29 :: v_dual_add_nc_u32 v50, -1, v65
	s_waitcnt vmcnt(6)
	v_mov_b32_dpp v38, v26 quad_perm:[3,0,1,2] row_mask:0xf bank_mask:0xf
	v_mov_b32_dpp v39, v27 quad_perm:[2,3,0,1] row_mask:0xf bank_mask:0xf
	v_mov_b32_dpp v40, v28 quad_perm:[1,2,3,0] row_mask:0xf bank_mask:0xf
	v_mov_b32_e32 v37, v25
	s_waitcnt vmcnt(5)
	v_mov_b32_dpp v42, v22 quad_perm:[3,0,1,2] row_mask:0xf bank_mask:0xf
	v_mov_b32_dpp v43, v23 quad_perm:[2,3,0,1] row_mask:0xf bank_mask:0xf
	v_mov_b32_dpp v44, v24 quad_perm:[1,2,3,0] row_mask:0xf bank_mask:0xf
	v_mov_b32_e32 v41, v21
	;; [unrolled: 5-line block ×3, first 2 shown]
	s_clause 0x3
	scratch_store_b128 off, v[33:36], off
	scratch_store_b128 off, v[37:40], off offset:16
	scratch_store_b128 off, v[41:44], off offset:32
	scratch_store_b128 off, v[45:48], off offset:48
	s_waitcnt vmcnt(3)
	v_mov_b32_dpp v34, v14 quad_perm:[3,0,1,2] row_mask:0xf bank_mask:0xf
	v_mov_b32_dpp v35, v15 quad_perm:[2,3,0,1] row_mask:0xf bank_mask:0xf
	;; [unrolled: 1-line block ×3, first 2 shown]
	v_mov_b32_e32 v33, v13
	v_and_b32_e32 v49, 3, v65
	s_waitcnt vmcnt(2)
	v_mov_b32_dpp v38, v10 quad_perm:[3,0,1,2] row_mask:0xf bank_mask:0xf
	v_mov_b32_dpp v39, v11 quad_perm:[2,3,0,1] row_mask:0xf bank_mask:0xf
	;; [unrolled: 1-line block ×3, first 2 shown]
	v_mov_b32_e32 v37, v9
	s_clause 0x1
	scratch_store_b128 off, v[33:36], off offset:64
	scratch_store_b128 off, v[37:40], off offset:80
	v_and_b32_e32 v33, 3, v50
	v_xor_b32_e32 v35, 2, v49
	s_waitcnt vmcnt(1)
	v_mov_b32_dpp v42, v6 quad_perm:[3,0,1,2] row_mask:0xf bank_mask:0xf
	v_mov_b32_dpp v43, v7 quad_perm:[2,3,0,1] row_mask:0xf bank_mask:0xf
	;; [unrolled: 1-line block ×3, first 2 shown]
	v_mov_b32_e32 v41, v5
	s_waitcnt vmcnt(0)
	v_mov_b32_dpp v46, v2 quad_perm:[3,0,1,2] row_mask:0xf bank_mask:0xf
	v_mov_b32_dpp v47, v3 quad_perm:[2,3,0,1] row_mask:0xf bank_mask:0xf
	;; [unrolled: 1-line block ×3, first 2 shown]
	v_mov_b32_e32 v45, v1
	v_lshl_or_b32 v51, v49, 2, 0
	v_lshl_or_b32 v33, v33, 2, 0
	;; [unrolled: 1-line block ×3, first 2 shown]
	v_add_nc_u32_e32 v35, 3, v35
	s_clause 0x1
	scratch_store_b128 off, v[41:44], off offset:96
	scratch_store_b128 off, v[45:48], off offset:112
	s_clause 0xd
	scratch_load_b32 v34, v51, off offset:16
	scratch_load_b32 v36, v51, off offset:48
	;; [unrolled: 1-line block ×4, first 2 shown]
	scratch_load_b32 v41, v33, off
	scratch_load_b32 v42, v33, off offset:16
	scratch_load_b32 v43, v33, off offset:32
	;; [unrolled: 1-line block ×9, first 2 shown]
	v_lshlrev_b32_e32 v33, 2, v35
	s_clause 0x1
	scratch_load_b32 v52, v37, off offset:80
	scratch_load_b32 v53, v37, off offset:112
	v_and_b32_e32 v56, 3, v35
	v_or_b32_e32 v39, 16, v33
	v_or_b32_e32 v54, 48, v33
	;; [unrolled: 1-line block ×4, first 2 shown]
	s_clause 0x5
	scratch_load_b32 v57, v39, off
	scratch_load_b32 v58, v54, off
	;; [unrolled: 1-line block ×5, first 2 shown]
	scratch_load_b32 v35, v51, off offset:32
	v_lshl_or_b32 v39, v56, 2, 0
	s_clause 0x9
	scratch_load_b32 v61, v37, off
	scratch_load_b32 v63, v37, off offset:32
	scratch_load_b32 v66, v37, off offset:64
	;; [unrolled: 1-line block ×3, first 2 shown]
	scratch_load_b32 v68, v39, off
	scratch_load_b32 v69, v39, off offset:32
	scratch_load_b32 v70, v39, off offset:64
	scratch_load_b32 v71, v39, off offset:96
	scratch_load_b32 v37, v51, off offset:64
	scratch_load_b32 v39, v51, off offset:96
	v_lshlrev_b32_e32 v51, 2, v65
	v_bfe_u32 v54, v65, 2, 1
	s_delay_alu instid0(VALU_DEP_2) | instskip(NEXT) | instid1(VALU_DEP_2)
	v_xor_b32_e32 v72, 16, v51
	v_xor_b32_e32 v51, 1, v54
	v_lshlrev_b32_e32 v73, 2, v54
	v_xor_b32_e32 v56, 3, v54
	v_xor_b32_e32 v60, 7, v54
	;; [unrolled: 1-line block ×4, first 2 shown]
	v_lshl_or_b32 v74, v51, 2, 0x80
	v_lshl_or_b32 v75, v56, 2, 0x80
	v_lshlrev_b32_e32 v77, 2, v60
	v_lshlrev_b32_e32 v78, 2, v62
	;; [unrolled: 1-line block ×3, first 2 shown]
	v_sub_nc_u32_e32 v76, 0x80, v73
	s_waitcnt vmcnt(27)
	v_mov_b32_dpp v41, v41 quad_perm:[1,2,3,0] row_mask:0xf bank_mask:0xf
	s_waitcnt vmcnt(26)
	v_mov_b32_dpp v42, v42 quad_perm:[1,2,3,0] row_mask:0xf bank_mask:0xf
	;; [unrolled: 2-line block ×6, first 2 shown]
	ds_bpermute_b32 v34, v72, v34
	s_waitcnt vmcnt(20)
	v_mov_b32_dpp v48, v48 quad_perm:[1,2,3,0] row_mask:0xf bank_mask:0xf
	s_waitcnt vmcnt(19)
	v_mov_b32_dpp v49, v49 quad_perm:[2,3,0,1] row_mask:0xf bank_mask:0xf
	;; [unrolled: 2-line block ×4, first 2 shown]
	ds_bpermute_b32 v36, v72, v36
	ds_bpermute_b32 v38, v72, v38
	;; [unrolled: 1-line block ×4, first 2 shown]
	s_waitcnt vmcnt(15)
	v_mov_b32_dpp v49, v57 quad_perm:[3,0,1,2] row_mask:0xf bank_mask:0xf
	s_waitcnt vmcnt(14)
	v_mov_b32_dpp v51, v58 quad_perm:[3,0,1,2] row_mask:0xf bank_mask:0xf
	s_waitcnt vmcnt(13)
	v_mov_b32_dpp v55, v55 quad_perm:[3,0,1,2] row_mask:0xf bank_mask:0xf
	s_waitcnt vmcnt(12)
	v_mov_b32_dpp v57, v59 quad_perm:[3,0,1,2] row_mask:0xf bank_mask:0xf
	ds_bpermute_b32 v40, v72, v40
	v_mov_b32_dpp v53, v53 quad_perm:[2,3,0,1] row_mask:0xf bank_mask:0xf
	ds_bpermute_b32 v42, v72, v42
	ds_bpermute_b32 v44, v72, v44
	;; [unrolled: 1-line block ×10, first 2 shown]
	v_mov_b32_dpp v47, v47 quad_perm:[1,2,3,0] row_mask:0xf bank_mask:0xf
	s_waitcnt vmcnt(5)
	v_mov_b32_dpp v57, v68 quad_perm:[3,0,1,2] row_mask:0xf bank_mask:0xf
	s_waitcnt vmcnt(4)
	v_mov_b32_dpp v59, v69 quad_perm:[3,0,1,2] row_mask:0xf bank_mask:0xf
	v_mov_b32_dpp v49, v61 quad_perm:[2,3,0,1] row_mask:0xf bank_mask:0xf
	;; [unrolled: 1-line block ×3, first 2 shown]
	s_waitcnt vmcnt(3)
	v_mov_b32_dpp v61, v70 quad_perm:[3,0,1,2] row_mask:0xf bank_mask:0xf
	s_waitcnt vmcnt(2)
	v_mov_b32_dpp v63, v71 quad_perm:[3,0,1,2] row_mask:0xf bank_mask:0xf
	s_waitcnt lgkmcnt(14)
	scratch_store_b128 off, v[33:36], off offset:128
	s_waitcnt vmcnt(0) lgkmcnt(10)
	scratch_store_b128 off, v[37:40], off offset:144
	v_or_b32_e32 v36, 0x80, v73
	v_mov_b32_dpp v53, v66 quad_perm:[2,3,0,1] row_mask:0xf bank_mask:0xf
	v_mov_b32_dpp v55, v67 quad_perm:[2,3,0,1] row_mask:0xf bank_mask:0xf
	s_clause 0x1
	scratch_load_b32 v33, v74, off
	scratch_load_b32 v34, v75, off
	s_waitcnt lgkmcnt(8)
	scratch_store_b128 off, v[41:44], off offset:160
	s_waitcnt lgkmcnt(6)
	s_clause 0x1
	scratch_store_b128 off, v[45:48], off offset:176
	scratch_store_b128 off, v[49:52], off offset:192
	s_waitcnt lgkmcnt(0)
	scratch_store_b128 off, v[53:56], off offset:208
	s_clause 0x1
	scratch_load_b32 v35, v77, off offset:128
	scratch_load_b32 v49, v78, off offset:128
	s_clause 0x1
	scratch_store_b128 off, v[57:60], off offset:224
	scratch_store_b128 off, v[61:64], off offset:240
	s_clause 0x1b
	scratch_load_b32 v50, v76, off offset:20
	scratch_load_b32 v51, v76, off offset:36
	;; [unrolled: 1-line block ×12, first 2 shown]
	scratch_load_b32 v53, v36, off
	scratch_load_b32 v54, v36, off offset:8
	scratch_load_b32 v55, v36, off offset:16
	;; [unrolled: 1-line block ×15, first 2 shown]
	s_waitcnt vmcnt(26)
	ds_bpermute_b32 v57, v72, v51
	ds_bpermute_b32 v33, v72, v33
	;; [unrolled: 1-line block ×3, first 2 shown]
	s_waitcnt vmcnt(25)
	ds_bpermute_b32 v58, v72, v52
	s_waitcnt vmcnt(24)
	ds_bpermute_b32 v59, v72, v59
	;; [unrolled: 2-line block ×4, first 2 shown]
	ds_bpermute_b32 v36, v72, v35
	ds_bpermute_b32 v60, v72, v49
	;; [unrolled: 1-line block ×3, first 2 shown]
	s_waitcnt vmcnt(21)
	ds_bpermute_b32 v63, v72, v63
	s_waitcnt vmcnt(20)
	ds_bpermute_b32 v64, v72, v64
	;; [unrolled: 2-line block ×5, first 2 shown]
	ds_bpermute_b32 v52, v72, v68
	s_and_not1_b32 vcc_lo, exec_lo, s0
	s_cbranch_vccz .LBB30_3
	s_branch .LBB30_4
.LBB30_2:
                                        ; implicit-def: $vgpr52
                                        ; implicit-def: $vgpr64
                                        ; implicit-def: $vgpr60
                                        ; implicit-def: $vgpr36
                                        ; implicit-def: $vgpr40
                                        ; implicit-def: $vgpr44
                                        ; implicit-def: $vgpr48
                                        ; implicit-def: $vgpr56
.LBB30_3:
	s_waitcnt vmcnt(7)
	v_mov_b32_dpp v30, v30 quad_perm:[3,0,1,2] row_mask:0xf bank_mask:0xf
	v_mov_b32_dpp v31, v31 quad_perm:[2,3,0,1] row_mask:0xf bank_mask:0xf
	v_mov_b32_dpp v32, v32 quad_perm:[1,2,3,0] row_mask:0xf bank_mask:0xf
	s_waitcnt vmcnt(6)
	v_mov_b32_dpp v26, v26 quad_perm:[3,0,1,2] row_mask:0xf bank_mask:0xf
	v_mov_b32_dpp v27, v27 quad_perm:[2,3,0,1] row_mask:0xf bank_mask:0xf
	v_mov_b32_dpp v28, v28 quad_perm:[1,2,3,0] row_mask:0xf bank_mask:0xf
	;; [unrolled: 4-line block ×4, first 2 shown]
	s_clause 0x3
	scratch_store_b128 off, v[29:32], off
	scratch_store_b128 off, v[25:28], off offset:16
	scratch_store_b128 off, v[21:24], off offset:32
	;; [unrolled: 1-line block ×3, first 2 shown]
	s_waitcnt vmcnt(3)
	v_mov_b32_dpp v14, v14 quad_perm:[3,0,1,2] row_mask:0xf bank_mask:0xf
	v_mov_b32_dpp v15, v15 quad_perm:[2,3,0,1] row_mask:0xf bank_mask:0xf
	;; [unrolled: 1-line block ×3, first 2 shown]
	s_waitcnt vmcnt(1)
	v_mov_b32_dpp v6, v6 quad_perm:[3,0,1,2] row_mask:0xf bank_mask:0xf
	v_mov_b32_dpp v7, v7 quad_perm:[2,3,0,1] row_mask:0xf bank_mask:0xf
	;; [unrolled: 1-line block ×3, first 2 shown]
	v_and_b32_e32 v17, 3, v65
	v_add_nc_u32_e32 v18, -1, v65
	v_mov_b32_dpp v10, v10 quad_perm:[3,0,1,2] row_mask:0xf bank_mask:0xf
	v_mov_b32_dpp v11, v11 quad_perm:[2,3,0,1] row_mask:0xf bank_mask:0xf
	;; [unrolled: 1-line block ×3, first 2 shown]
	s_waitcnt vmcnt(0)
	v_mov_b32_dpp v2, v2 quad_perm:[3,0,1,2] row_mask:0xf bank_mask:0xf
	v_mov_b32_dpp v3, v3 quad_perm:[2,3,0,1] row_mask:0xf bank_mask:0xf
	;; [unrolled: 1-line block ×3, first 2 shown]
	s_clause 0x1
	scratch_store_b128 off, v[13:16], off offset:64
	scratch_store_b128 off, v[9:12], off offset:80
	v_and_b32_e32 v9, 3, v18
	s_clause 0x1
	scratch_store_b128 off, v[5:8], off offset:96
	scratch_store_b128 off, v[1:4], off offset:112
	v_xor_b32_e32 v1, 2, v17
	v_lshl_or_b32 v19, v17, 2, 0
	v_lshl_or_b32 v3, v9, 2, 0
	s_delay_alu instid0(VALU_DEP_3)
	v_lshl_or_b32 v5, v1, 2, 0
	v_add_nc_u32_e32 v1, 3, v1
	s_clause 0xd
	scratch_load_b32 v2, v19, off offset:16
	scratch_load_b32 v4, v19, off offset:48
	;; [unrolled: 1-line block ×4, first 2 shown]
	scratch_load_b32 v9, v3, off
	scratch_load_b32 v10, v3, off offset:16
	scratch_load_b32 v11, v3, off offset:32
	;; [unrolled: 1-line block ×9, first 2 shown]
	v_lshlrev_b32_e32 v3, 2, v1
	s_clause 0x1
	scratch_load_b32 v20, v5, off offset:80
	scratch_load_b32 v21, v5, off offset:112
	v_and_b32_e32 v24, 3, v1
	v_or_b32_e32 v7, 16, v3
	v_or_b32_e32 v22, 48, v3
	;; [unrolled: 1-line block ×4, first 2 shown]
	s_clause 0x5
	scratch_load_b32 v25, v7, off
	scratch_load_b32 v26, v22, off
	;; [unrolled: 1-line block ×5, first 2 shown]
	scratch_load_b32 v3, v19, off offset:32
	v_lshl_or_b32 v7, v24, 2, 0
	s_clause 0x1
	scratch_load_b32 v29, v5, off
	scratch_load_b32 v31, v5, off offset:32
	s_waitcnt lgkmcnt(14)
	scratch_load_b32 v33, v5, off offset:64
	s_waitcnt lgkmcnt(13)
	;; [unrolled: 2-line block ×3, first 2 shown]
	s_clause 0x5
	scratch_load_b32 v35, v7, off
	scratch_load_b32 v36, v7, off offset:32
	scratch_load_b32 v37, v7, off offset:64
	;; [unrolled: 1-line block ×5, first 2 shown]
	v_lshlrev_b32_e32 v19, 2, v65
	v_bfe_u32 v22, v65, 2, 1
	s_waitcnt lgkmcnt(0)
	s_delay_alu instid0(VALU_DEP_2) | instskip(NEXT) | instid1(VALU_DEP_2)
	v_xor_b32_e32 v52, 16, v19
	v_xor_b32_e32 v19, 1, v22
	v_lshlrev_b32_e32 v39, 2, v22
	v_xor_b32_e32 v24, 3, v22
	v_xor_b32_e32 v28, 7, v22
	;; [unrolled: 1-line block ×4, first 2 shown]
	v_lshl_or_b32 v40, v19, 2, 0x80
	v_lshl_or_b32 v41, v24, 2, 0x80
	v_lshlrev_b32_e32 v43, 2, v28
	v_lshlrev_b32_e32 v44, 2, v30
	;; [unrolled: 1-line block ×3, first 2 shown]
	v_sub_nc_u32_e32 v42, 0x80, v39
	s_waitcnt vmcnt(27)
	v_mov_b32_dpp v9, v9 quad_perm:[1,2,3,0] row_mask:0xf bank_mask:0xf
	s_waitcnt vmcnt(26)
	v_mov_b32_dpp v10, v10 quad_perm:[1,2,3,0] row_mask:0xf bank_mask:0xf
	;; [unrolled: 2-line block ×6, first 2 shown]
	ds_bpermute_b32 v2, v52, v2
	s_waitcnt vmcnt(20)
	v_mov_b32_dpp v16, v16 quad_perm:[1,2,3,0] row_mask:0xf bank_mask:0xf
	s_waitcnt vmcnt(19)
	v_mov_b32_dpp v17, v17 quad_perm:[2,3,0,1] row_mask:0xf bank_mask:0xf
	;; [unrolled: 2-line block ×5, first 2 shown]
	ds_bpermute_b32 v4, v52, v4
	ds_bpermute_b32 v18, v52, v17
	;; [unrolled: 1-line block ×3, first 2 shown]
	s_waitcnt vmcnt(15)
	v_mov_b32_dpp v17, v25 quad_perm:[3,0,1,2] row_mask:0xf bank_mask:0xf
	s_waitcnt vmcnt(14)
	v_mov_b32_dpp v19, v26 quad_perm:[3,0,1,2] row_mask:0xf bank_mask:0xf
	;; [unrolled: 2-line block ×4, first 2 shown]
	ds_bpermute_b32 v6, v52, v6
	ds_bpermute_b32 v8, v52, v8
	;; [unrolled: 1-line block ×12, first 2 shown]
	v_mov_b32_dpp v15, v15 quad_perm:[1,2,3,0] row_mask:0xf bank_mask:0xf
	s_waitcnt vmcnt(5)
	v_mov_b32_dpp v25, v35 quad_perm:[3,0,1,2] row_mask:0xf bank_mask:0xf
	s_waitcnt vmcnt(4)
	v_mov_b32_dpp v27, v36 quad_perm:[3,0,1,2] row_mask:0xf bank_mask:0xf
	v_mov_b32_dpp v17, v29 quad_perm:[2,3,0,1] row_mask:0xf bank_mask:0xf
	;; [unrolled: 1-line block ×3, first 2 shown]
	s_waitcnt vmcnt(3)
	v_mov_b32_dpp v29, v37 quad_perm:[3,0,1,2] row_mask:0xf bank_mask:0xf
	s_waitcnt vmcnt(2)
	v_mov_b32_dpp v31, v38 quad_perm:[3,0,1,2] row_mask:0xf bank_mask:0xf
	v_mov_b32_dpp v21, v33 quad_perm:[2,3,0,1] row_mask:0xf bank_mask:0xf
	;; [unrolled: 1-line block ×3, first 2 shown]
	s_waitcnt lgkmcnt(14)
	scratch_store_b128 off, v[1:4], off offset:128
	s_waitcnt vmcnt(0) lgkmcnt(10)
	scratch_store_b128 off, v[5:8], off offset:144
	s_clause 0x1
	scratch_load_b32 v1, v40, off
	scratch_load_b32 v2, v41, off
	s_waitcnt lgkmcnt(8)
	scratch_store_b128 off, v[9:12], off offset:160
	s_waitcnt lgkmcnt(6)
	s_clause 0x1
	scratch_store_b128 off, v[13:16], off offset:176
	scratch_store_b128 off, v[17:20], off offset:192
	s_waitcnt lgkmcnt(0)
	scratch_store_b128 off, v[21:24], off offset:208
	s_clause 0x1
	scratch_load_b32 v3, v43, off offset:128
	scratch_load_b32 v4, v44, off offset:128
	s_clause 0x1
	scratch_store_b128 off, v[25:28], off offset:224
	scratch_store_b128 off, v[29:32], off offset:240
	s_clause 0xb
	scratch_load_b32 v5, v42, off offset:20
	scratch_load_b32 v6, v42, off offset:36
	;; [unrolled: 1-line block ×12, first 2 shown]
	v_or_b32_e32 v17, 0x80, v39
	s_clause 0xf
	scratch_load_b32 v53, v17, off
	scratch_load_b32 v54, v17, off offset:8
	scratch_load_b32 v55, v17, off offset:16
	;; [unrolled: 1-line block ×15, first 2 shown]
	s_waitcnt vmcnt(27)
	ds_bpermute_b32 v35, v52, v5
	ds_bpermute_b32 v33, v52, v1
	;; [unrolled: 1-line block ×3, first 2 shown]
	s_waitcnt vmcnt(26)
	ds_bpermute_b32 v57, v52, v6
	s_waitcnt vmcnt(25)
	ds_bpermute_b32 v58, v52, v7
	;; [unrolled: 2-line block ×5, first 2 shown]
	ds_bpermute_b32 v36, v52, v3
	ds_bpermute_b32 v60, v52, v4
	s_waitcnt vmcnt(21)
	ds_bpermute_b32 v63, v52, v11
	s_waitcnt vmcnt(20)
	;; [unrolled: 2-line block ×5, first 2 shown]
	ds_bpermute_b32 v51, v52, v16
	ds_bpermute_b32 v52, v52, v15
.LBB30_4:
	v_lshlrev_b32_e32 v0, 2, v0
	s_waitcnt vmcnt(12)
	global_store_b128 v0, v[53:56], s[6:7]
	s_waitcnt vmcnt(8)
	global_store_b128 v0, v[45:48], s[6:7] offset:16
	s_waitcnt vmcnt(4)
	global_store_b128 v0, v[41:44], s[6:7] offset:32
	;; [unrolled: 2-line block ×3, first 2 shown]
	s_waitcnt lgkmcnt(6)
	s_clause 0x1
	global_store_b128 v0, v[33:36], s[6:7] offset:64
	global_store_b128 v0, v[57:60], s[6:7] offset:80
	s_waitcnt lgkmcnt(4)
	global_store_b128 v0, v[61:64], s[6:7] offset:96
	s_waitcnt lgkmcnt(0)
	global_store_b128 v0, v[49:52], s[6:7] offset:112
	s_endpgm
	.section	.rodata,"a",@progbits
	.p2align	6, 0x0
	.amdhsa_kernel _Z20warp_exchange_kernelILj32ELj8EN6common25BlockedToStripedShuffleOpEiEvPT2_S3_b
		.amdhsa_group_segment_fixed_size 0
		.amdhsa_private_segment_fixed_size 272
		.amdhsa_kernarg_size 20
		.amdhsa_user_sgpr_count 15
		.amdhsa_user_sgpr_dispatch_ptr 0
		.amdhsa_user_sgpr_queue_ptr 0
		.amdhsa_user_sgpr_kernarg_segment_ptr 1
		.amdhsa_user_sgpr_dispatch_id 0
		.amdhsa_user_sgpr_private_segment_size 0
		.amdhsa_wavefront_size32 1
		.amdhsa_uses_dynamic_stack 0
		.amdhsa_enable_private_segment 1
		.amdhsa_system_sgpr_workgroup_id_x 1
		.amdhsa_system_sgpr_workgroup_id_y 0
		.amdhsa_system_sgpr_workgroup_id_z 0
		.amdhsa_system_sgpr_workgroup_info 0
		.amdhsa_system_vgpr_workitem_id 0
		.amdhsa_next_free_vgpr 80
		.amdhsa_next_free_sgpr 8
		.amdhsa_reserve_vcc 1
		.amdhsa_float_round_mode_32 0
		.amdhsa_float_round_mode_16_64 0
		.amdhsa_float_denorm_mode_32 3
		.amdhsa_float_denorm_mode_16_64 3
		.amdhsa_dx10_clamp 1
		.amdhsa_ieee_mode 1
		.amdhsa_fp16_overflow 0
		.amdhsa_workgroup_processor_mode 1
		.amdhsa_memory_ordered 1
		.amdhsa_forward_progress 0
		.amdhsa_shared_vgpr_count 0
		.amdhsa_exception_fp_ieee_invalid_op 0
		.amdhsa_exception_fp_denorm_src 0
		.amdhsa_exception_fp_ieee_div_zero 0
		.amdhsa_exception_fp_ieee_overflow 0
		.amdhsa_exception_fp_ieee_underflow 0
		.amdhsa_exception_fp_ieee_inexact 0
		.amdhsa_exception_int_div_zero 0
	.end_amdhsa_kernel
	.section	.text._Z20warp_exchange_kernelILj32ELj8EN6common25BlockedToStripedShuffleOpEiEvPT2_S3_b,"axG",@progbits,_Z20warp_exchange_kernelILj32ELj8EN6common25BlockedToStripedShuffleOpEiEvPT2_S3_b,comdat
.Lfunc_end30:
	.size	_Z20warp_exchange_kernelILj32ELj8EN6common25BlockedToStripedShuffleOpEiEvPT2_S3_b, .Lfunc_end30-_Z20warp_exchange_kernelILj32ELj8EN6common25BlockedToStripedShuffleOpEiEvPT2_S3_b
                                        ; -- End function
	.section	.AMDGPU.csdata,"",@progbits
; Kernel info:
; codeLenInByte = 3640
; NumSgprs: 10
; NumVgprs: 80
; ScratchSize: 272
; MemoryBound: 1
; FloatMode: 240
; IeeeMode: 1
; LDSByteSize: 0 bytes/workgroup (compile time only)
; SGPRBlocks: 1
; VGPRBlocks: 9
; NumSGPRsForWavesPerEU: 10
; NumVGPRsForWavesPerEU: 80
; Occupancy: 16
; WaveLimiterHint : 0
; COMPUTE_PGM_RSRC2:SCRATCH_EN: 1
; COMPUTE_PGM_RSRC2:USER_SGPR: 15
; COMPUTE_PGM_RSRC2:TRAP_HANDLER: 0
; COMPUTE_PGM_RSRC2:TGID_X_EN: 1
; COMPUTE_PGM_RSRC2:TGID_Y_EN: 0
; COMPUTE_PGM_RSRC2:TGID_Z_EN: 0
; COMPUTE_PGM_RSRC2:TIDIG_COMP_CNT: 0
	.section	.text._Z20warp_exchange_kernelILj32ELj64EN6common25BlockedToStripedShuffleOpEaEvPT2_S3_b,"axG",@progbits,_Z20warp_exchange_kernelILj32ELj64EN6common25BlockedToStripedShuffleOpEaEvPT2_S3_b,comdat
	.protected	_Z20warp_exchange_kernelILj32ELj64EN6common25BlockedToStripedShuffleOpEaEvPT2_S3_b ; -- Begin function _Z20warp_exchange_kernelILj32ELj64EN6common25BlockedToStripedShuffleOpEaEvPT2_S3_b
	.globl	_Z20warp_exchange_kernelILj32ELj64EN6common25BlockedToStripedShuffleOpEaEvPT2_S3_b
	.p2align	8
	.type	_Z20warp_exchange_kernelILj32ELj64EN6common25BlockedToStripedShuffleOpEaEvPT2_S3_b,@function
_Z20warp_exchange_kernelILj32ELj64EN6common25BlockedToStripedShuffleOpEaEvPT2_S3_b: ; @_Z20warp_exchange_kernelILj32ELj64EN6common25BlockedToStripedShuffleOpEaEvPT2_S3_b
; %bb.0:
	s_endpgm
	.section	.rodata,"a",@progbits
	.p2align	6, 0x0
	.amdhsa_kernel _Z20warp_exchange_kernelILj32ELj64EN6common25BlockedToStripedShuffleOpEaEvPT2_S3_b
		.amdhsa_group_segment_fixed_size 0
		.amdhsa_private_segment_fixed_size 0
		.amdhsa_kernarg_size 20
		.amdhsa_user_sgpr_count 15
		.amdhsa_user_sgpr_dispatch_ptr 0
		.amdhsa_user_sgpr_queue_ptr 0
		.amdhsa_user_sgpr_kernarg_segment_ptr 1
		.amdhsa_user_sgpr_dispatch_id 0
		.amdhsa_user_sgpr_private_segment_size 0
		.amdhsa_wavefront_size32 1
		.amdhsa_uses_dynamic_stack 0
		.amdhsa_enable_private_segment 0
		.amdhsa_system_sgpr_workgroup_id_x 1
		.amdhsa_system_sgpr_workgroup_id_y 0
		.amdhsa_system_sgpr_workgroup_id_z 0
		.amdhsa_system_sgpr_workgroup_info 0
		.amdhsa_system_vgpr_workitem_id 0
		.amdhsa_next_free_vgpr 1
		.amdhsa_next_free_sgpr 1
		.amdhsa_reserve_vcc 0
		.amdhsa_float_round_mode_32 0
		.amdhsa_float_round_mode_16_64 0
		.amdhsa_float_denorm_mode_32 3
		.amdhsa_float_denorm_mode_16_64 3
		.amdhsa_dx10_clamp 1
		.amdhsa_ieee_mode 1
		.amdhsa_fp16_overflow 0
		.amdhsa_workgroup_processor_mode 1
		.amdhsa_memory_ordered 1
		.amdhsa_forward_progress 0
		.amdhsa_shared_vgpr_count 0
		.amdhsa_exception_fp_ieee_invalid_op 0
		.amdhsa_exception_fp_denorm_src 0
		.amdhsa_exception_fp_ieee_div_zero 0
		.amdhsa_exception_fp_ieee_overflow 0
		.amdhsa_exception_fp_ieee_underflow 0
		.amdhsa_exception_fp_ieee_inexact 0
		.amdhsa_exception_int_div_zero 0
	.end_amdhsa_kernel
	.section	.text._Z20warp_exchange_kernelILj32ELj64EN6common25BlockedToStripedShuffleOpEaEvPT2_S3_b,"axG",@progbits,_Z20warp_exchange_kernelILj32ELj64EN6common25BlockedToStripedShuffleOpEaEvPT2_S3_b,comdat
.Lfunc_end31:
	.size	_Z20warp_exchange_kernelILj32ELj64EN6common25BlockedToStripedShuffleOpEaEvPT2_S3_b, .Lfunc_end31-_Z20warp_exchange_kernelILj32ELj64EN6common25BlockedToStripedShuffleOpEaEvPT2_S3_b
                                        ; -- End function
	.section	.AMDGPU.csdata,"",@progbits
; Kernel info:
; codeLenInByte = 4
; NumSgprs: 0
; NumVgprs: 0
; ScratchSize: 0
; MemoryBound: 0
; FloatMode: 240
; IeeeMode: 1
; LDSByteSize: 0 bytes/workgroup (compile time only)
; SGPRBlocks: 0
; VGPRBlocks: 0
; NumSGPRsForWavesPerEU: 1
; NumVGPRsForWavesPerEU: 1
; Occupancy: 16
; WaveLimiterHint : 0
; COMPUTE_PGM_RSRC2:SCRATCH_EN: 0
; COMPUTE_PGM_RSRC2:USER_SGPR: 15
; COMPUTE_PGM_RSRC2:TRAP_HANDLER: 0
; COMPUTE_PGM_RSRC2:TGID_X_EN: 1
; COMPUTE_PGM_RSRC2:TGID_Y_EN: 0
; COMPUTE_PGM_RSRC2:TGID_Z_EN: 0
; COMPUTE_PGM_RSRC2:TIDIG_COMP_CNT: 0
	.section	.text._Z20warp_exchange_kernelILj8ELj32EN6common25BlockedToStripedShuffleOpEdEvPT2_S3_b,"axG",@progbits,_Z20warp_exchange_kernelILj8ELj32EN6common25BlockedToStripedShuffleOpEdEvPT2_S3_b,comdat
	.protected	_Z20warp_exchange_kernelILj8ELj32EN6common25BlockedToStripedShuffleOpEdEvPT2_S3_b ; -- Begin function _Z20warp_exchange_kernelILj8ELj32EN6common25BlockedToStripedShuffleOpEdEvPT2_S3_b
	.globl	_Z20warp_exchange_kernelILj8ELj32EN6common25BlockedToStripedShuffleOpEdEvPT2_S3_b
	.p2align	8
	.type	_Z20warp_exchange_kernelILj8ELj32EN6common25BlockedToStripedShuffleOpEdEvPT2_S3_b,@function
_Z20warp_exchange_kernelILj8ELj32EN6common25BlockedToStripedShuffleOpEdEvPT2_S3_b: ; @_Z20warp_exchange_kernelILj8ELj32EN6common25BlockedToStripedShuffleOpEdEvPT2_S3_b
; %bb.0:
	s_load_b128 s[4:7], s[0:1], 0x0
	v_lshlrev_b32_e32 v5, 6, v0
	s_load_b32 s0, s[0:1], 0x10
	v_lshlrev_b32_e32 v0, 3, v0
	v_mbcnt_lo_u32_b32 v33, -1, 0
	s_waitcnt lgkmcnt(0)
	s_clause 0x3
	global_load_b128 v[9:12], v5, s[4:5] offset:48
	global_load_b128 v[1:4], v5, s[4:5] offset:32
	;; [unrolled: 1-line block ×3, first 2 shown]
	global_load_b128 v[5:8], v5, s[4:5]
	s_mov_b32 s4, 0
	s_bitcmp0_b32 s0, 0
	s_cbranch_scc0 .LBB32_2
; %bb.1:
	v_and_b32_e32 v19, 3, v33
	s_waitcnt vmcnt(0)
	v_mov_b32_dpp v20, v7 quad_perm:[3,0,1,2] row_mask:0xf bank_mask:0xf
	v_mov_b32_dpp v21, v8 quad_perm:[3,0,1,2] row_mask:0xf bank_mask:0xf
	;; [unrolled: 1-line block ×4, first 2 shown]
	v_cmp_eq_u32_e32 vcc_lo, 1, v19
	v_cmp_eq_u32_e64 s0, 2, v19
	v_cmp_eq_u32_e64 s1, 3, v19
	v_mov_b32_dpp v22, v13 quad_perm:[2,3,0,1] row_mask:0xf bank_mask:0xf
	v_mov_b32_dpp v24, v15 quad_perm:[1,2,3,0] row_mask:0xf bank_mask:0xf
	v_dual_cndmask_b32 v17, v5, v20 :: v_dual_cndmask_b32 v18, v6, v21
	v_cmp_eq_u32_e32 vcc_lo, 4, v19
	v_mov_b32_dpp v26, v3 quad_perm:[3,0,1,2] row_mask:0xf bank_mask:0xf
	v_mov_b32_dpp v27, v4 quad_perm:[3,0,1,2] row_mask:0xf bank_mask:0xf
	s_delay_alu instid0(VALU_DEP_4)
	v_cndmask_b32_e64 v17, v17, v22, s0
	v_cndmask_b32_e64 v18, v18, v23, s0
	v_mov_b32_dpp v28, v9 quad_perm:[2,3,0,1] row_mask:0xf bank_mask:0xf
	v_mov_b32_dpp v29, v10 quad_perm:[2,3,0,1] row_mask:0xf bank_mask:0xf
	;; [unrolled: 1-line block ×3, first 2 shown]
	v_cndmask_b32_e64 v17, v17, v24, s1
	v_cndmask_b32_e64 v18, v18, v25, s1
	v_mov_b32_dpp v32, v12 quad_perm:[1,2,3,0] row_mask:0xf bank_mask:0xf
	v_add_nc_u32_e32 v36, -1, v33
	s_delay_alu instid0(VALU_DEP_3) | instskip(SKIP_4) | instid1(VALU_DEP_4)
	v_cndmask_b32_e32 v18, v18, v2, vcc_lo
	v_or_b32_e32 v31, 4, v19
	v_cmp_eq_u32_e64 s0, 5, v19
	v_cmp_eq_u32_e64 s2, 6, v19
	v_and_b32_e32 v36, 3, v36
	v_cmp_eq_u32_e64 s1, 1, v31
	s_delay_alu instid0(VALU_DEP_4) | instskip(NEXT) | instid1(VALU_DEP_2)
	v_cndmask_b32_e64 v18, v18, v27, s0
	v_cndmask_b32_e64 v34, v6, v21, s1
	v_cndmask_b32_e32 v17, v17, v1, vcc_lo
	v_cmp_eq_u32_e32 vcc_lo, 2, v31
	v_cndmask_b32_e64 v35, v5, v20, s1
	v_cmp_eq_u32_e64 s1, 7, v19
	v_cndmask_b32_e64 v18, v18, v29, s2
	v_xor_b32_e32 v19, 2, v19
	v_cndmask_b32_e32 v34, v34, v23, vcc_lo
	v_cndmask_b32_e64 v17, v17, v26, s0
	v_cmp_eq_u32_e64 s0, 3, v31
	v_cndmask_b32_e32 v35, v35, v22, vcc_lo
	v_cmp_eq_u32_e32 vcc_lo, 4, v31
	v_cndmask_b32_e64 v18, v18, v32, s1
	v_cndmask_b32_e64 v17, v17, v28, s2
	;; [unrolled: 1-line block ×4, first 2 shown]
	v_cmp_eq_u32_e64 s0, 5, v31
	s_delay_alu instid0(VALU_DEP_4) | instskip(NEXT) | instid1(VALU_DEP_3)
	v_cndmask_b32_e64 v17, v17, v30, s1
	v_dual_cndmask_b32 v34, v34, v2 :: v_dual_cndmask_b32 v35, v35, v1
	v_cmp_eq_u32_e32 vcc_lo, 1, v36
	v_cmp_eq_u32_e64 s1, 6, v31
	s_delay_alu instid0(VALU_DEP_3) | instskip(NEXT) | instid1(VALU_DEP_4)
	v_cndmask_b32_e64 v34, v34, v27, s0
	v_cndmask_b32_e64 v35, v35, v26, s0
	v_cndmask_b32_e32 v37, v6, v21, vcc_lo
	v_cmp_eq_u32_e64 s0, 2, v36
	v_cndmask_b32_e32 v38, v5, v20, vcc_lo
	v_cndmask_b32_e64 v34, v34, v29, s1
	v_cmp_eq_u32_e32 vcc_lo, 7, v31
	s_delay_alu instid0(VALU_DEP_4) | instskip(NEXT) | instid1(VALU_DEP_3)
	v_cndmask_b32_e64 v37, v37, v23, s0
	v_cndmask_b32_e32 v31, v34, v32, vcc_lo
	v_cndmask_b32_e64 v34, v35, v28, s1
	v_cmp_eq_u32_e64 s1, 3, v36
	s_delay_alu instid0(VALU_DEP_2) | instskip(NEXT) | instid1(VALU_DEP_2)
	v_cndmask_b32_e32 v34, v34, v30, vcc_lo
	v_cndmask_b32_e64 v35, v37, v25, s1
	v_cmp_eq_u32_e32 vcc_lo, 4, v36
	s_delay_alu instid0(VALU_DEP_2) | instskip(SKIP_2) | instid1(VALU_DEP_2)
	v_cndmask_b32_e32 v35, v35, v2, vcc_lo
	v_cndmask_b32_e64 v37, v38, v22, s0
	v_or_b32_e32 v38, 4, v36
	v_cndmask_b32_e64 v37, v37, v24, s1
	s_delay_alu instid0(VALU_DEP_2) | instskip(SKIP_1) | instid1(VALU_DEP_3)
	v_cmp_eq_u32_e64 s0, 1, v38
	v_cmp_eq_u32_e64 s1, 5, v36
	v_cndmask_b32_e32 v37, v37, v1, vcc_lo
	s_delay_alu instid0(VALU_DEP_3)
	v_cndmask_b32_e64 v39, v6, v21, s0
	v_cmp_eq_u32_e32 vcc_lo, 2, v38
	v_cndmask_b32_e64 v40, v5, v20, s0
	v_cmp_eq_u32_e64 s0, 6, v36
	v_cndmask_b32_e64 v37, v37, v26, s1
	v_cndmask_b32_e64 v35, v35, v27, s1
	v_cndmask_b32_e32 v39, v39, v23, vcc_lo
	v_cmp_eq_u32_e64 s1, 3, v38
	v_cndmask_b32_e32 v40, v40, v22, vcc_lo
	v_cmp_eq_u32_e32 vcc_lo, 7, v36
	v_cndmask_b32_e64 v36, v37, v28, s0
	v_cndmask_b32_e64 v35, v35, v29, s0
	v_cmp_eq_u32_e64 s0, 4, v38
	s_delay_alu instid0(VALU_DEP_3) | instskip(SKIP_1) | instid1(VALU_DEP_1)
	v_cndmask_b32_e32 v36, v36, v30, vcc_lo
	v_cndmask_b32_e64 v39, v39, v25, s1
	v_cndmask_b32_e64 v37, v39, v2, s0
	;; [unrolled: 1-line block ×3, first 2 shown]
	v_cmp_eq_u32_e64 s1, 6, v38
	s_delay_alu instid0(VALU_DEP_2) | instskip(SKIP_1) | instid1(VALU_DEP_1)
	v_cndmask_b32_e64 v39, v39, v1, s0
	v_cmp_eq_u32_e64 s0, 1, v19
	v_cndmask_b32_e64 v40, v6, v21, s0
	v_cndmask_b32_e32 v35, v35, v32, vcc_lo
	v_cmp_eq_u32_e32 vcc_lo, 5, v38
	v_cndmask_b32_e64 v41, v5, v20, s0
	v_cmp_eq_u32_e64 s0, 7, v38
	v_cndmask_b32_e32 v37, v37, v27, vcc_lo
	v_cndmask_b32_e32 v39, v39, v26, vcc_lo
	v_cmp_eq_u32_e32 vcc_lo, 2, v19
	s_delay_alu instid0(VALU_DEP_3) | instskip(NEXT) | instid1(VALU_DEP_3)
	v_cndmask_b32_e64 v37, v37, v29, s1
	v_cndmask_b32_e64 v38, v39, v28, s1
	v_cndmask_b32_e32 v40, v40, v23, vcc_lo
	v_cmp_eq_u32_e64 s1, 3, v19
	s_delay_alu instid0(VALU_DEP_4) | instskip(NEXT) | instid1(VALU_DEP_4)
	v_cndmask_b32_e64 v37, v37, v32, s0
	v_cndmask_b32_e64 v38, v38, v30, s0
	s_delay_alu instid0(VALU_DEP_3) | instskip(SKIP_3) | instid1(VALU_DEP_3)
	v_cndmask_b32_e64 v39, v40, v25, s1
	v_cndmask_b32_e32 v40, v41, v22, vcc_lo
	v_or_b32_e32 v41, 4, v19
	v_cmp_eq_u32_e32 vcc_lo, 4, v19
	v_cndmask_b32_e64 v40, v40, v24, s1
	s_delay_alu instid0(VALU_DEP_3)
	v_cmp_eq_u32_e64 s0, 1, v41
	v_cmp_eq_u32_e64 s1, 5, v19
	v_cndmask_b32_e32 v39, v39, v2, vcc_lo
	v_cmp_eq_u32_e64 s2, 4, v41
	v_cndmask_b32_e32 v40, v40, v1, vcc_lo
	v_cndmask_b32_e64 v42, v6, v21, s0
	v_cmp_eq_u32_e32 vcc_lo, 2, v41
	v_cndmask_b32_e64 v43, v5, v20, s0
	v_cmp_eq_u32_e64 s0, 6, v19
	v_cndmask_b32_e64 v40, v40, v26, s1
	s_delay_alu instid0(VALU_DEP_3) | instskip(SKIP_1) | instid1(VALU_DEP_3)
	v_dual_cndmask_b32 v42, v42, v23 :: v_dual_cndmask_b32 v43, v43, v22
	v_cmp_eq_u32_e32 vcc_lo, 7, v19
	v_cndmask_b32_e64 v40, v40, v28, s0
	s_delay_alu instid0(VALU_DEP_1) | instskip(NEXT) | instid1(VALU_DEP_1)
	v_dual_cndmask_b32 v40, v40, v30 :: v_dual_add_nc_u32 v19, 3, v19
	v_and_b32_e32 v44, 3, v19
	v_cndmask_b32_e64 v39, v39, v27, s1
	v_cmp_eq_u32_e64 s1, 3, v41
	v_or_b32_e32 v19, 4, v19
	s_delay_alu instid0(VALU_DEP_3) | instskip(NEXT) | instid1(VALU_DEP_3)
	v_cndmask_b32_e64 v39, v39, v29, s0
	v_cndmask_b32_e64 v42, v42, v25, s1
	v_cmp_eq_u32_e64 s0, 5, v41
	s_delay_alu instid0(VALU_DEP_3) | instskip(NEXT) | instid1(VALU_DEP_3)
	v_cndmask_b32_e32 v39, v39, v32, vcc_lo
	v_cndmask_b32_e64 v42, v42, v2, s2
	v_cmp_eq_u32_e32 vcc_lo, 6, v41
	s_delay_alu instid0(VALU_DEP_2) | instskip(NEXT) | instid1(VALU_DEP_1)
	v_cndmask_b32_e64 v42, v42, v27, s0
	v_cndmask_b32_e32 v42, v42, v29, vcc_lo
	v_cndmask_b32_e64 v43, v43, v24, s1
	v_cmp_eq_u32_e64 s1, 7, v41
	s_delay_alu instid0(VALU_DEP_2) | instskip(NEXT) | instid1(VALU_DEP_2)
	v_cndmask_b32_e64 v43, v43, v1, s2
	v_cndmask_b32_e64 v41, v42, v32, s1
	v_cmp_eq_u32_e64 s2, 2, v44
	s_delay_alu instid0(VALU_DEP_3) | instskip(SKIP_1) | instid1(VALU_DEP_2)
	v_cndmask_b32_e64 v43, v43, v26, s0
	v_cmp_eq_u32_e64 s0, 1, v44
	v_cndmask_b32_e32 v42, v43, v28, vcc_lo
	s_delay_alu instid0(VALU_DEP_2) | instskip(SKIP_1) | instid1(VALU_DEP_2)
	v_cndmask_b32_e64 v45, v6, v21, s0
	v_cmp_eq_u32_e32 vcc_lo, 1, v19
	v_cndmask_b32_e64 v43, v45, v23, s2
	v_cndmask_b32_e32 v21, v6, v21, vcc_lo
	v_cndmask_b32_e64 v45, v5, v20, s0
	v_cmp_eq_u32_e64 s0, 2, v19
	v_cndmask_b32_e32 v20, v5, v20, vcc_lo
	v_cmp_eq_u32_e32 vcc_lo, 3, v44
	s_delay_alu instid0(VALU_DEP_4) | instskip(NEXT) | instid1(VALU_DEP_4)
	v_cndmask_b32_e64 v45, v45, v22, s2
	v_cndmask_b32_e64 v21, v21, v23, s0
	v_cmp_eq_u32_e64 s2, 3, v19
	v_cndmask_b32_e32 v43, v43, v25, vcc_lo
	v_cndmask_b32_e64 v20, v20, v22, s0
	v_cmp_eq_u32_e64 s0, 4, v44
	s_delay_alu instid0(VALU_DEP_4) | instskip(SKIP_1) | instid1(VALU_DEP_4)
	v_cndmask_b32_e64 v21, v21, v25, s2
	v_mov_b32_dpp v25, v35 quad_perm:[1,2,3,0] row_mask:0xf bank_mask:0xf
	v_cndmask_b32_e64 v20, v20, v24, s2
	v_cndmask_b32_e32 v23, v45, v24, vcc_lo
	v_cmp_eq_u32_e32 vcc_lo, 4, v19
	v_cndmask_b32_e64 v22, v43, v2, s0
	v_cmp_eq_u32_e64 s2, 5, v44
	v_mov_b32_dpp v35, v41 quad_perm:[2,3,0,1] row_mask:0xf bank_mask:0xf
	v_lshrrev_b32_e32 v41, 2, v33
	v_cndmask_b32_e32 v20, v20, v1, vcc_lo
	v_cndmask_b32_e64 v23, v23, v1, s0
	v_cndmask_b32_e32 v21, v21, v2, vcc_lo
	v_cmp_eq_u32_e32 vcc_lo, 5, v19
	v_cndmask_b32_e64 v22, v22, v27, s2
	v_cmp_eq_u32_e64 s0, 6, v44
	v_cndmask_b32_e64 v23, v23, v26, s2
	v_cmp_eq_u32_e64 s2, 7, v19
	v_dual_cndmask_b32 v21, v21, v27 :: v_dual_cndmask_b32 v20, v20, v26
	v_cmp_eq_u32_e32 vcc_lo, 6, v19
	v_cndmask_b32_e64 v22, v22, v29, s0
	v_cndmask_b32_e64 v23, v23, v28, s0
	v_cmp_eq_u32_e64 s0, 7, v44
	v_mov_b32_dpp v24, v36 quad_perm:[1,2,3,0] row_mask:0xf bank_mask:0xf
	v_cndmask_b32_e32 v21, v21, v29, vcc_lo
	v_dual_cndmask_b32 v19, v20, v28 :: v_dual_add_nc_u32 v36, 20, v33
	s_delay_alu instid0(VALU_DEP_4) | instskip(SKIP_1) | instid1(VALU_DEP_4)
	v_cndmask_b32_e64 v22, v22, v32, s0
	v_cmp_eq_u32_e32 vcc_lo, 1, v41
	v_cndmask_b32_e64 v21, v21, v32, s2
	v_add_nc_u32_e32 v32, 24, v33
	v_mov_b32_dpp v26, v38 quad_perm:[1,2,3,0] row_mask:0xf bank_mask:0xf
	v_cndmask_b32_e64 v20, v42, v30, s1
	v_mov_b32_dpp v27, v37 quad_perm:[1,2,3,0] row_mask:0xf bank_mask:0xf
	v_cndmask_b32_e64 v23, v23, v30, s0
	v_and_b32_e32 v32, 31, v32
	v_cndmask_b32_e64 v19, v19, v30, s2
	v_mov_b32_dpp v20, v20 quad_perm:[2,3,0,1] row_mask:0xf bank_mask:0xf
	v_mov_b32_dpp v30, v39 quad_perm:[2,3,0,1] row_mask:0xf bank_mask:0xf
	;; [unrolled: 1-line block ×3, first 2 shown]
	v_lshlrev_b32_e32 v32, 2, v32
	v_mov_b32_dpp v23, v23 quad_perm:[3,0,1,2] row_mask:0xf bank_mask:0xf
	v_mov_b32_dpp v19, v19 quad_perm:[3,0,1,2] row_mask:0xf bank_mask:0xf
	v_cmp_eq_u32_e64 s0, 2, v41
	v_cmp_eq_u32_e64 s2, 3, v41
	ds_bpermute_b32 v24, v32, v24
	v_add_nc_u32_e32 v38, 12, v33
	v_cmp_eq_u32_e64 s3, 4, v41
	v_mov_b32_dpp v22, v22 quad_perm:[3,0,1,2] row_mask:0xf bank_mask:0xf
	v_mov_b32_dpp v21, v21 quad_perm:[3,0,1,2] row_mask:0xf bank_mask:0xf
	s_delay_alu instid0(VALU_DEP_4) | instskip(NEXT) | instid1(VALU_DEP_1)
	v_and_b32_e32 v38, 31, v38
	v_lshlrev_b32_e32 v38, 2, v38
	ds_bpermute_b32 v42, v38, v20
	v_add_nc_u32_e32 v29, 28, v33
	ds_bpermute_b32 v35, v38, v35
	v_add_nc_u32_e32 v39, 8, v33
	v_add_nc_u32_e32 v40, 4, v33
	v_add_nc_u32_e32 v20, -1, v41
	v_and_b32_e32 v29, 31, v29
	v_add_nc_u32_e32 v47, 6, v41
	v_and_b32_e32 v39, 31, v39
	v_and_b32_e32 v40, 31, v40
	s_delay_alu instid0(VALU_DEP_4) | instskip(NEXT) | instid1(VALU_DEP_4)
	v_lshlrev_b32_e32 v37, 2, v29
	v_and_b32_e32 v47, 7, v47
	s_delay_alu instid0(VALU_DEP_4) | instskip(NEXT) | instid1(VALU_DEP_4)
	v_lshlrev_b32_e32 v39, 2, v39
	v_lshlrev_b32_e32 v40, 2, v40
	ds_bpermute_b32 v31, v37, v31
	ds_bpermute_b32 v34, v37, v34
	;; [unrolled: 1-line block ×5, first 2 shown]
	s_waitcnt lgkmcnt(4)
	v_cndmask_b32_e32 v23, v18, v31, vcc_lo
	ds_bpermute_b32 v25, v32, v25
	v_and_b32_e32 v29, 31, v36
	s_waitcnt lgkmcnt(4)
	v_dual_cndmask_b32 v45, v17, v34 :: v_dual_lshlrev_b32 v36, 2, v33
	s_delay_alu instid0(VALU_DEP_2) | instskip(NEXT) | instid1(VALU_DEP_2)
	v_lshlrev_b32_e32 v29, 2, v29
	v_xor_b32_e32 v36, 64, v36
	ds_bpermute_b32 v27, v29, v27
	ds_bpermute_b32 v30, v36, v30
	v_and_b32_e32 v20, 7, v20
	ds_bpermute_b32 v26, v29, v26
	ds_bpermute_b32 v28, v36, v28
	v_cmp_eq_u32_e64 s1, 1, v20
	v_cmp_eq_u32_e32 vcc_lo, 2, v20
	s_waitcnt lgkmcnt(4)
	v_cndmask_b32_e64 v19, v23, v25, s0
	s_delay_alu instid0(VALU_DEP_3) | instskip(NEXT) | instid1(VALU_DEP_1)
	v_cndmask_b32_e64 v23, v18, v31, s1
	v_cndmask_b32_e32 v23, v23, v25, vcc_lo
	s_waitcnt lgkmcnt(3)
	s_delay_alu instid0(VALU_DEP_3) | instskip(SKIP_1) | instid1(VALU_DEP_1)
	v_cndmask_b32_e64 v19, v19, v27, s2
	s_waitcnt lgkmcnt(2)
	v_cndmask_b32_e64 v46, v19, v30, s3
	v_cndmask_b32_e64 v19, v45, v24, s0
	v_cmp_eq_u32_e64 s0, 3, v20
	v_cndmask_b32_e64 v45, v17, v34, s1
	v_cmp_eq_u32_e64 s1, 4, v20
	s_waitcnt lgkmcnt(1)
	v_cndmask_b32_e64 v19, v19, v26, s2
	v_cndmask_b32_e64 v23, v23, v27, s0
	v_cndmask_b32_e32 v45, v45, v24, vcc_lo
	v_cmp_eq_u32_e32 vcc_lo, 5, v20
	v_cmp_eq_u32_e64 s2, 6, v20
	s_waitcnt lgkmcnt(0)
	v_cndmask_b32_e64 v48, v19, v28, s3
	v_cndmask_b32_e64 v23, v23, v30, s1
	s_delay_alu instid0(VALU_DEP_1) | instskip(SKIP_2) | instid1(VALU_DEP_3)
	v_cndmask_b32_e32 v19, v23, v35, vcc_lo
	v_cndmask_b32_e64 v23, v45, v26, s0
	v_cmp_eq_u32_e64 s0, 1, v47
	v_cndmask_b32_e64 v19, v19, v22, s2
	s_delay_alu instid0(VALU_DEP_3) | instskip(NEXT) | instid1(VALU_DEP_3)
	v_cndmask_b32_e64 v23, v23, v28, s1
	v_cndmask_b32_e64 v45, v18, v31, s0
	v_cmp_eq_u32_e64 s1, 2, v47
	v_cndmask_b32_e64 v49, v17, v34, s0
	v_cmp_eq_u32_e64 s0, 7, v20
	v_cndmask_b32_e32 v20, v23, v42, vcc_lo
	v_cmp_eq_u32_e32 vcc_lo, 3, v47
	v_cndmask_b32_e64 v45, v45, v25, s1
	s_delay_alu instid0(VALU_DEP_3) | instskip(NEXT) | instid1(VALU_DEP_2)
	v_cndmask_b32_e64 v20, v20, v43, s2
	v_cndmask_b32_e32 v23, v45, v27, vcc_lo
	v_cndmask_b32_e64 v45, v49, v24, s1
	v_cmp_eq_u32_e64 s1, 4, v47
	v_add_nc_u32_e32 v49, 5, v41
	v_cndmask_b32_e64 v20, v20, v44, s0
	s_delay_alu instid0(VALU_DEP_4) | instskip(SKIP_1) | instid1(VALU_DEP_4)
	v_cndmask_b32_e32 v45, v45, v26, vcc_lo
	v_cmp_eq_u32_e32 vcc_lo, 5, v47
	v_and_b32_e32 v49, 7, v49
	v_cndmask_b32_e64 v23, v23, v30, s1
	s_delay_alu instid0(VALU_DEP_4) | instskip(SKIP_1) | instid1(VALU_DEP_4)
	v_cndmask_b32_e64 v45, v45, v28, s1
	v_cmp_eq_u32_e64 s1, 6, v47
	v_cmp_eq_u32_e64 s2, 3, v49
	s_delay_alu instid0(VALU_DEP_4) | instskip(NEXT) | instid1(VALU_DEP_4)
	v_cndmask_b32_e32 v23, v23, v35, vcc_lo
	v_cndmask_b32_e32 v45, v45, v42, vcc_lo
	ds_bpermute_b32 v21, v40, v21
	v_cmp_eq_u32_e32 vcc_lo, 2, v49
	v_cndmask_b32_e64 v23, v23, v22, s1
	v_cndmask_b32_e64 v45, v45, v43, s1
	v_cmp_eq_u32_e64 s1, 5, v49
	s_waitcnt lgkmcnt(0)
	v_cndmask_b32_e64 v19, v19, v21, s0
	v_cmp_eq_u32_e64 s0, 1, v49
	s_delay_alu instid0(VALU_DEP_1) | instskip(SKIP_2) | instid1(VALU_DEP_3)
	v_cndmask_b32_e64 v50, v18, v31, s0
	v_cndmask_b32_e64 v51, v17, v34, s0
	v_cmp_eq_u32_e64 s0, 7, v47
	v_cndmask_b32_e32 v50, v50, v25, vcc_lo
	s_delay_alu instid0(VALU_DEP_2) | instskip(SKIP_1) | instid1(VALU_DEP_3)
	v_cndmask_b32_e64 v47, v23, v21, s0
	v_cndmask_b32_e64 v45, v45, v44, s0
	;; [unrolled: 1-line block ×3, first 2 shown]
	v_cndmask_b32_e32 v50, v51, v24, vcc_lo
	v_xor_b32_e32 v51, 4, v41
	v_cmp_eq_u32_e32 vcc_lo, 4, v49
	s_delay_alu instid0(VALU_DEP_3) | instskip(NEXT) | instid1(VALU_DEP_3)
	v_cndmask_b32_e64 v50, v50, v26, s2
	v_cmp_eq_u32_e64 s0, 1, v51
	v_dual_cndmask_b32 v23, v23, v30 :: v_dual_add_nc_u32 v56, 6, v51
	s_delay_alu instid0(VALU_DEP_3) | instskip(NEXT) | instid1(VALU_DEP_3)
	v_cndmask_b32_e32 v50, v50, v28, vcc_lo
	v_cndmask_b32_e64 v52, v18, v31, s0
	s_delay_alu instid0(VALU_DEP_3)
	v_cndmask_b32_e64 v23, v23, v35, s1
	v_cmp_eq_u32_e32 vcc_lo, 2, v51
	v_cndmask_b32_e64 v53, v17, v34, s0
	v_cmp_eq_u32_e64 s0, 6, v49
	v_cndmask_b32_e64 v50, v50, v42, s1
	v_cmp_eq_u32_e64 s1, 3, v51
	s_delay_alu instid0(VALU_DEP_4) | instskip(NEXT) | instid1(VALU_DEP_4)
	v_dual_cndmask_b32 v52, v52, v25 :: v_dual_cndmask_b32 v53, v53, v24
	v_cndmask_b32_e64 v23, v23, v22, s0
	v_cmp_eq_u32_e32 vcc_lo, 7, v49
	v_cndmask_b32_e64 v50, v50, v43, s0
	s_delay_alu instid0(VALU_DEP_4) | instskip(SKIP_4) | instid1(VALU_DEP_3)
	v_cndmask_b32_e64 v52, v52, v27, s1
	v_cndmask_b32_e64 v53, v53, v26, s1
	v_cmp_eq_u32_e64 s0, 4, v51
	v_dual_cndmask_b32 v49, v23, v21 :: v_dual_and_b32 v56, 7, v56
	v_dual_cndmask_b32 v50, v50, v44 :: v_dual_add_nc_u32 v23, -1, v51
	v_cndmask_b32_e64 v52, v52, v30, s0
	v_cmp_eq_u32_e32 vcc_lo, 5, v51
	v_cndmask_b32_e64 v53, v53, v28, s0
	s_delay_alu instid0(VALU_DEP_4) | instskip(SKIP_2) | instid1(VALU_DEP_4)
	v_and_b32_e32 v23, 7, v23
	v_cmp_eq_u32_e64 s1, 6, v51
	v_cmp_eq_u32_e64 s2, 2, v56
	v_dual_cndmask_b32 v52, v52, v35 :: v_dual_cndmask_b32 v53, v53, v42
	s_delay_alu instid0(VALU_DEP_4) | instskip(SKIP_1) | instid1(VALU_DEP_3)
	v_cmp_eq_u32_e64 s0, 1, v23
	v_cmp_eq_u32_e32 vcc_lo, 2, v23
	v_cndmask_b32_e64 v52, v52, v22, s1
	s_delay_alu instid0(VALU_DEP_4) | instskip(NEXT) | instid1(VALU_DEP_4)
	v_cndmask_b32_e64 v53, v53, v43, s1
	v_cndmask_b32_e64 v54, v18, v31, s0
	v_cndmask_b32_e64 v55, v17, v34, s0
	v_cmp_eq_u32_e64 s0, 3, v23
	v_cmp_eq_u32_e64 s1, 4, v23
	s_delay_alu instid0(VALU_DEP_3) | instskip(SKIP_2) | instid1(VALU_DEP_3)
	v_dual_cndmask_b32 v54, v54, v25 :: v_dual_cndmask_b32 v55, v55, v24
	v_cmp_eq_u32_e32 vcc_lo, 7, v51
	v_add_nc_u32_e32 v51, 5, v51
	v_cndmask_b32_e64 v54, v54, v27, s0
	s_delay_alu instid0(VALU_DEP_4) | instskip(SKIP_2) | instid1(VALU_DEP_4)
	v_cndmask_b32_e64 v55, v55, v26, s0
	v_dual_cndmask_b32 v52, v52, v21 :: v_dual_cndmask_b32 v53, v53, v44
	v_cmp_eq_u32_e32 vcc_lo, 5, v23
	v_cndmask_b32_e64 v54, v54, v30, s1
	s_delay_alu instid0(VALU_DEP_4) | instskip(SKIP_3) | instid1(VALU_DEP_4)
	v_cndmask_b32_e64 v55, v55, v28, s1
	v_cmp_eq_u32_e64 s0, 6, v23
	v_and_b32_e32 v51, 7, v51
	v_cmp_eq_u32_e64 s1, 7, v23
	v_dual_cndmask_b32 v54, v54, v35 :: v_dual_cndmask_b32 v55, v55, v42
	v_cmp_eq_u32_e32 vcc_lo, 1, v56
	s_delay_alu instid0(VALU_DEP_2) | instskip(NEXT) | instid1(VALU_DEP_3)
	v_cndmask_b32_e64 v54, v54, v22, s0
	v_cndmask_b32_e64 v23, v55, v43, s0
	v_cndmask_b32_e32 v57, v18, v31, vcc_lo
	v_cmp_eq_u32_e64 s0, 1, v51
	s_delay_alu instid0(VALU_DEP_4) | instskip(NEXT) | instid1(VALU_DEP_3)
	v_cndmask_b32_e64 v54, v54, v21, s1
	v_cndmask_b32_e64 v55, v57, v25, s2
	v_cndmask_b32_e32 v57, v17, v34, vcc_lo
	s_delay_alu instid0(VALU_DEP_4)
	v_cndmask_b32_e64 v18, v18, v31, s0
	v_cmp_eq_u32_e32 vcc_lo, 2, v51
	v_cndmask_b32_e64 v17, v17, v34, s0
	v_cmp_eq_u32_e64 s0, 3, v56
	v_cndmask_b32_e64 v34, v57, v24, s2
	v_cmp_eq_u32_e64 s2, 3, v51
	s_delay_alu instid0(VALU_DEP_4) | instskip(NEXT) | instid1(VALU_DEP_4)
	v_dual_cndmask_b32 v18, v18, v25 :: v_dual_cndmask_b32 v17, v17, v24
	v_cndmask_b32_e64 v31, v55, v27, s0
	v_cmp_eq_u32_e32 vcc_lo, 4, v56
	v_cndmask_b32_e64 v25, v34, v26, s0
	s_delay_alu instid0(VALU_DEP_4)
	v_cndmask_b32_e64 v18, v18, v27, s2
	v_cmp_eq_u32_e64 s0, 4, v51
	v_cndmask_b32_e64 v17, v17, v26, s2
	v_cndmask_b32_e32 v24, v31, v30, vcc_lo
	v_cmp_eq_u32_e64 s2, 5, v56
	v_cndmask_b32_e32 v25, v25, v28, vcc_lo
	v_cndmask_b32_e64 v18, v18, v30, s0
	v_cndmask_b32_e64 v17, v17, v28, s0
	v_cmp_eq_u32_e32 vcc_lo, 5, v51
	v_cndmask_b32_e64 v24, v24, v35, s2
	v_cmp_eq_u32_e64 s0, 6, v56
	v_cndmask_b32_e64 v25, v25, v42, s2
	v_cmp_eq_u32_e64 s2, 7, v51
	v_dual_cndmask_b32 v18, v18, v35 :: v_dual_cndmask_b32 v17, v17, v42
	v_cmp_eq_u32_e32 vcc_lo, 6, v51
	v_cndmask_b32_e64 v24, v24, v22, s0
	v_cndmask_b32_e64 v25, v25, v43, s0
	v_cmp_eq_u32_e64 s0, 7, v56
	v_cndmask_b32_e64 v27, v23, v44, s1
	v_dual_cndmask_b32 v18, v18, v22 :: v_dual_cndmask_b32 v17, v17, v43
	v_cmp_eq_u32_e32 vcc_lo, 5, v41
	s_delay_alu instid0(VALU_DEP_4) | instskip(SKIP_1) | instid1(VALU_DEP_4)
	v_cndmask_b32_e64 v30, v24, v21, s0
	v_cndmask_b32_e64 v31, v25, v44, s0
	;; [unrolled: 1-line block ×3, first 2 shown]
	ds_bpermute_b32 v27, v29, v27
	ds_bpermute_b32 v28, v29, v54
	;; [unrolled: 1-line block ×5, first 2 shown]
	v_dual_cndmask_b32 v34, v46, v35 :: v_dual_cndmask_b32 v35, v48, v42
	v_cmp_eq_u32_e32 vcc_lo, 6, v41
	v_cndmask_b32_e64 v51, v17, v44, s2
	ds_bpermute_b32 v23, v40, v20
	ds_bpermute_b32 v24, v40, v19
	ds_bpermute_b32 v17, v39, v45
	v_cndmask_b32_e32 v22, v34, v22, vcc_lo
	v_cndmask_b32_e32 v34, v35, v43, vcc_lo
	v_cmp_eq_u32_e32 vcc_lo, 7, v41
	ds_bpermute_b32 v18, v39, v47
	ds_bpermute_b32 v19, v38, v50
	;; [unrolled: 1-line block ×6, first 2 shown]
	v_cndmask_b32_e32 v22, v22, v21, vcc_lo
	v_cndmask_b32_e32 v21, v34, v44, vcc_lo
	s_and_not1_b32 vcc_lo, exec_lo, s4
	s_cbranch_vccz .LBB32_3
	s_branch .LBB32_4
.LBB32_2:
                                        ; implicit-def: $vgpr31_vgpr32
                                        ; implicit-def: $vgpr27_vgpr28
                                        ; implicit-def: $vgpr19_vgpr20
                                        ; implicit-def: $vgpr23_vgpr24
.LBB32_3:
	s_waitcnt vmcnt(0)
	v_mov_b32_dpp v7, v7 quad_perm:[3,0,1,2] row_mask:0xf bank_mask:0xf
	s_waitcnt lgkmcnt(6)
	v_and_b32_e32 v17, 3, v33
	v_mov_b32_dpp v13, v13 quad_perm:[2,3,0,1] row_mask:0xf bank_mask:0xf
	v_mov_b32_dpp v8, v8 quad_perm:[3,0,1,2] row_mask:0xf bank_mask:0xf
	;; [unrolled: 1-line block ×4, first 2 shown]
	v_cmp_eq_u32_e32 vcc_lo, 1, v17
	s_waitcnt lgkmcnt(4)
	v_mov_b32_dpp v19, v3 quad_perm:[3,0,1,2] row_mask:0xf bank_mask:0xf
	s_waitcnt lgkmcnt(3)
	v_mov_b32_dpp v20, v4 quad_perm:[3,0,1,2] row_mask:0xf bank_mask:0xf
	v_mov_b32_dpp v16, v16 quad_perm:[1,2,3,0] row_mask:0xf bank_mask:0xf
	;; [unrolled: 1-line block ×3, first 2 shown]
	v_cndmask_b32_e32 v18, v5, v7, vcc_lo
	v_cmp_eq_u32_e64 s0, 2, v17
	v_cmp_eq_u32_e64 s1, 3, v17
	v_mov_b32_dpp v10, v10 quad_perm:[2,3,0,1] row_mask:0xf bank_mask:0xf
	v_cmp_eq_u32_e64 s2, 6, v17
	v_mov_b32_dpp v11, v11 quad_perm:[1,2,3,0] row_mask:0xf bank_mask:0xf
	v_cndmask_b32_e64 v18, v18, v13, s0
	v_mov_b32_dpp v12, v12 quad_perm:[1,2,3,0] row_mask:0xf bank_mask:0xf
	v_add_nc_u32_e32 v23, -1, v33
	s_delay_alu instid0(VALU_DEP_3)
	v_cndmask_b32_e64 v3, v18, v15, s1
	v_cndmask_b32_e32 v4, v6, v8, vcc_lo
	v_cmp_eq_u32_e32 vcc_lo, 4, v17
	v_or_b32_e32 v18, 4, v17
	v_and_b32_e32 v23, 3, v23
	v_cndmask_b32_e32 v3, v3, v1, vcc_lo
	v_cndmask_b32_e64 v4, v4, v14, s0
	v_cmp_eq_u32_e64 s0, 5, v17
	s_delay_alu instid0(VALU_DEP_2) | instskip(SKIP_1) | instid1(VALU_DEP_3)
	v_cndmask_b32_e64 v4, v4, v16, s1
	v_cmp_eq_u32_e64 s1, 1, v18
	v_cndmask_b32_e64 v3, v3, v19, s0
	s_delay_alu instid0(VALU_DEP_3) | instskip(NEXT) | instid1(VALU_DEP_3)
	v_cndmask_b32_e32 v4, v4, v2, vcc_lo
	v_cndmask_b32_e64 v21, v6, v8, s1
	v_cmp_eq_u32_e32 vcc_lo, 2, v18
	v_cndmask_b32_e64 v22, v5, v7, s1
	v_cndmask_b32_e64 v3, v3, v9, s2
	;; [unrolled: 1-line block ×3, first 2 shown]
	v_cmp_eq_u32_e64 s0, 3, v18
	s_delay_alu instid0(VALU_DEP_4) | instskip(SKIP_3) | instid1(VALU_DEP_4)
	v_dual_cndmask_b32 v21, v21, v14 :: v_dual_cndmask_b32 v22, v22, v13
	v_cmp_eq_u32_e32 vcc_lo, 4, v18
	v_cmp_eq_u32_e64 s1, 7, v17
	v_cndmask_b32_e64 v4, v4, v10, s2
	v_cndmask_b32_e64 v21, v21, v16, s0
	;; [unrolled: 1-line block ×3, first 2 shown]
	v_cmp_eq_u32_e64 s0, 5, v18
	v_cndmask_b32_e64 v3, v3, v11, s1
	v_cndmask_b32_e64 v4, v4, v12, s1
	s_delay_alu instid0(VALU_DEP_4) | instskip(SKIP_3) | instid1(VALU_DEP_4)
	v_dual_cndmask_b32 v21, v21, v2 :: v_dual_cndmask_b32 v22, v22, v1
	v_cmp_eq_u32_e32 vcc_lo, 1, v23
	v_cmp_eq_u32_e64 s1, 6, v18
	v_xor_b32_e32 v17, 2, v17
	v_cndmask_b32_e64 v21, v21, v20, s0
	v_cndmask_b32_e64 v22, v22, v19, s0
	v_cndmask_b32_e32 v24, v6, v8, vcc_lo
	v_cmp_eq_u32_e64 s0, 2, v23
	s_waitcnt lgkmcnt(2)
	v_cndmask_b32_e32 v25, v5, v7, vcc_lo
	v_cndmask_b32_e64 v21, v21, v10, s1
	v_cmp_eq_u32_e32 vcc_lo, 7, v18
	v_cndmask_b32_e64 v24, v24, v14, s0
	s_delay_alu instid0(VALU_DEP_3) | instskip(SKIP_2) | instid1(VALU_DEP_2)
	v_cndmask_b32_e32 v18, v21, v12, vcc_lo
	v_cndmask_b32_e64 v21, v22, v9, s1
	v_cmp_eq_u32_e64 s1, 3, v23
	v_cndmask_b32_e32 v21, v21, v11, vcc_lo
	s_delay_alu instid0(VALU_DEP_2) | instskip(SKIP_1) | instid1(VALU_DEP_2)
	v_cndmask_b32_e64 v22, v24, v16, s1
	v_cmp_eq_u32_e32 vcc_lo, 4, v23
	v_cndmask_b32_e32 v22, v22, v2, vcc_lo
	v_cndmask_b32_e64 v24, v25, v13, s0
	v_or_b32_e32 v25, 4, v23
	s_delay_alu instid0(VALU_DEP_2) | instskip(NEXT) | instid1(VALU_DEP_2)
	v_cndmask_b32_e64 v24, v24, v15, s1
	v_cmp_eq_u32_e64 s0, 1, v25
	v_cmp_eq_u32_e64 s1, 5, v23
	s_delay_alu instid0(VALU_DEP_3) | instskip(SKIP_1) | instid1(VALU_DEP_3)
	v_cndmask_b32_e32 v24, v24, v1, vcc_lo
	s_waitcnt lgkmcnt(1)
	v_cndmask_b32_e64 v26, v6, v8, s0
	v_cmp_eq_u32_e32 vcc_lo, 2, v25
	v_cndmask_b32_e64 v27, v5, v7, s0
	v_cmp_eq_u32_e64 s0, 6, v23
	v_cndmask_b32_e64 v24, v24, v19, s1
	v_cndmask_b32_e64 v22, v22, v20, s1
	v_cndmask_b32_e32 v26, v26, v14, vcc_lo
	v_cmp_eq_u32_e64 s1, 3, v25
	v_cndmask_b32_e32 v27, v27, v13, vcc_lo
	v_cmp_eq_u32_e32 vcc_lo, 7, v23
	v_cndmask_b32_e64 v23, v24, v9, s0
	v_cndmask_b32_e64 v22, v22, v10, s0
	v_cmp_eq_u32_e64 s0, 4, v25
	s_delay_alu instid0(VALU_DEP_3) | instskip(SKIP_1) | instid1(VALU_DEP_1)
	v_cndmask_b32_e32 v23, v23, v11, vcc_lo
	v_cndmask_b32_e64 v26, v26, v16, s1
	v_cndmask_b32_e64 v24, v26, v2, s0
	;; [unrolled: 1-line block ×3, first 2 shown]
	v_cmp_eq_u32_e64 s1, 6, v25
	s_delay_alu instid0(VALU_DEP_2) | instskip(SKIP_1) | instid1(VALU_DEP_1)
	v_cndmask_b32_e64 v26, v26, v1, s0
	v_cmp_eq_u32_e64 s0, 1, v17
	v_cndmask_b32_e64 v27, v6, v8, s0
	v_cndmask_b32_e32 v22, v22, v12, vcc_lo
	v_cmp_eq_u32_e32 vcc_lo, 5, v25
	v_cndmask_b32_e64 v28, v5, v7, s0
	v_cmp_eq_u32_e64 s0, 7, v25
	v_cndmask_b32_e32 v24, v24, v20, vcc_lo
	v_cndmask_b32_e32 v26, v26, v19, vcc_lo
	v_cmp_eq_u32_e32 vcc_lo, 2, v17
	s_delay_alu instid0(VALU_DEP_3) | instskip(NEXT) | instid1(VALU_DEP_3)
	v_cndmask_b32_e64 v24, v24, v10, s1
	v_cndmask_b32_e64 v25, v26, v9, s1
	v_cndmask_b32_e32 v27, v27, v14, vcc_lo
	v_cmp_eq_u32_e64 s1, 3, v17
	s_delay_alu instid0(VALU_DEP_4) | instskip(NEXT) | instid1(VALU_DEP_4)
	v_cndmask_b32_e64 v24, v24, v12, s0
	v_cndmask_b32_e64 v25, v25, v11, s0
	s_delay_alu instid0(VALU_DEP_3) | instskip(SKIP_3) | instid1(VALU_DEP_3)
	v_cndmask_b32_e64 v26, v27, v16, s1
	v_cndmask_b32_e32 v27, v28, v13, vcc_lo
	v_or_b32_e32 v28, 4, v17
	v_cmp_eq_u32_e32 vcc_lo, 4, v17
	v_cndmask_b32_e64 v27, v27, v15, s1
	s_delay_alu instid0(VALU_DEP_3)
	v_cmp_eq_u32_e64 s0, 1, v28
	v_cndmask_b32_e32 v26, v26, v2, vcc_lo
	v_cmp_eq_u32_e64 s1, 5, v17
	v_cmp_eq_u32_e64 s2, 4, v28
	v_cndmask_b32_e32 v27, v27, v1, vcc_lo
	v_cndmask_b32_e64 v29, v6, v8, s0
	v_cmp_eq_u32_e32 vcc_lo, 2, v28
	v_cndmask_b32_e64 v30, v5, v7, s0
	v_cmp_eq_u32_e64 s0, 6, v17
	v_cndmask_b32_e64 v27, v27, v19, s1
	s_delay_alu instid0(VALU_DEP_3)
	v_dual_cndmask_b32 v29, v29, v14 :: v_dual_cndmask_b32 v30, v30, v13
	v_cmp_eq_u32_e32 vcc_lo, 7, v17
	v_add_nc_u32_e32 v17, 3, v17
	v_cndmask_b32_e64 v26, v26, v20, s1
	v_cmp_eq_u32_e64 s1, 3, v28
	v_cndmask_b32_e64 v27, v27, v9, s0
	s_waitcnt lgkmcnt(0)
	v_and_b32_e32 v31, 3, v17
	v_cndmask_b32_e64 v26, v26, v10, s0
	v_cndmask_b32_e64 v29, v29, v16, s1
	v_cndmask_b32_e64 v30, v30, v15, s1
	v_cmp_eq_u32_e64 s0, 5, v28
	s_delay_alu instid0(VALU_DEP_4) | instskip(NEXT) | instid1(VALU_DEP_4)
	v_dual_cndmask_b32 v27, v27, v11 :: v_dual_cndmask_b32 v26, v26, v12
	v_cndmask_b32_e64 v29, v29, v2, s2
	s_delay_alu instid0(VALU_DEP_4)
	v_cndmask_b32_e64 v30, v30, v1, s2
	v_cmp_eq_u32_e32 vcc_lo, 6, v28
	v_or_b32_e32 v17, 4, v17
	v_cmp_eq_u32_e64 s1, 7, v28
	v_cndmask_b32_e64 v29, v29, v20, s0
	v_cndmask_b32_e64 v30, v30, v19, s0
	v_cmp_eq_u32_e64 s0, 1, v31
	s_delay_alu instid0(VALU_DEP_3) | instskip(NEXT) | instid1(VALU_DEP_2)
	v_cndmask_b32_e32 v29, v29, v10, vcc_lo
	v_cndmask_b32_e64 v32, v6, v8, s0
	s_delay_alu instid0(VALU_DEP_2) | instskip(SKIP_4) | instid1(VALU_DEP_1)
	v_cndmask_b32_e64 v28, v29, v12, s1
	v_cndmask_b32_e32 v29, v30, v9, vcc_lo
	v_cmp_eq_u32_e32 vcc_lo, 1, v17
	v_cndmask_b32_e32 v6, v6, v8, vcc_lo
	v_cmp_eq_u32_e64 s2, 2, v31
	v_cndmask_b32_e64 v30, v32, v14, s2
	v_cndmask_b32_e64 v32, v5, v7, s0
	v_cmp_eq_u32_e64 s0, 2, v17
	s_delay_alu instid0(VALU_DEP_2) | instskip(NEXT) | instid1(VALU_DEP_2)
	v_cndmask_b32_e64 v8, v32, v13, s2
	v_cndmask_b32_e64 v6, v6, v14, s0
	v_cmp_eq_u32_e64 s2, 3, v17
	v_mov_b32_dpp v14, v26 quad_perm:[2,3,0,1] row_mask:0xf bank_mask:0xf
	s_delay_alu instid0(VALU_DEP_2) | instskip(SKIP_2) | instid1(VALU_DEP_2)
	v_cndmask_b32_e64 v6, v6, v16, s2
	v_cndmask_b32_e32 v5, v5, v7, vcc_lo
	v_cmp_eq_u32_e32 vcc_lo, 3, v31
	v_cndmask_b32_e64 v5, v5, v13, s0
	v_cndmask_b32_e32 v7, v30, v16, vcc_lo
	v_cmp_eq_u32_e64 s0, 4, v31
	v_cndmask_b32_e32 v8, v8, v15, vcc_lo
	v_cmp_eq_u32_e32 vcc_lo, 4, v17
	v_cndmask_b32_e64 v5, v5, v15, s2
	v_cmp_eq_u32_e64 s2, 5, v31
	v_cndmask_b32_e64 v7, v7, v2, s0
	v_cndmask_b32_e64 v8, v8, v1, s0
	s_delay_alu instid0(VALU_DEP_4) | instskip(SKIP_1) | instid1(VALU_DEP_4)
	v_dual_cndmask_b32 v2, v6, v2 :: v_dual_cndmask_b32 v1, v5, v1
	v_cmp_eq_u32_e32 vcc_lo, 5, v17
	v_cndmask_b32_e64 v7, v7, v20, s2
	v_cmp_eq_u32_e64 s0, 6, v31
	v_cndmask_b32_e64 v5, v8, v19, s2
	v_cmp_eq_u32_e64 s2, 7, v17
	v_dual_cndmask_b32 v2, v2, v20 :: v_dual_cndmask_b32 v1, v1, v19
	v_cmp_eq_u32_e32 vcc_lo, 6, v17
	v_lshlrev_b32_e32 v20, 2, v33
	v_cndmask_b32_e64 v6, v7, v10, s0
	v_cndmask_b32_e64 v5, v5, v9, s0
	v_cmp_eq_u32_e64 s0, 7, v31
	v_dual_cndmask_b32 v2, v2, v10 :: v_dual_add_nc_u32 v13, 28, v33
	v_xor_b32_e32 v26, 64, v20
	v_cndmask_b32_e32 v1, v1, v9, vcc_lo
	s_delay_alu instid0(VALU_DEP_4) | instskip(NEXT) | instid1(VALU_DEP_4)
	v_cndmask_b32_e64 v6, v6, v12, s0
	v_cndmask_b32_e64 v2, v2, v12, s2
	v_mov_b32_dpp v12, v27 quad_perm:[2,3,0,1] row_mask:0xf bank_mask:0xf
	v_and_b32_e32 v13, 31, v13
	ds_bpermute_b32 v14, v26, v14
	v_add_nc_u32_e32 v17, 20, v33
	v_mov_b32_dpp v9, v22 quad_perm:[1,2,3,0] row_mask:0xf bank_mask:0xf
	ds_bpermute_b32 v12, v26, v12
	v_lshlrev_b32_e32 v13, 2, v13
	v_mov_b32_dpp v10, v25 quad_perm:[1,2,3,0] row_mask:0xf bank_mask:0xf
	v_and_b32_e32 v17, 31, v17
	v_mov_b32_dpp v16, v28 quad_perm:[2,3,0,1] row_mask:0xf bank_mask:0xf
	v_cndmask_b32_e64 v5, v5, v11, s0
	ds_bpermute_b32 v19, v13, v21
	ds_bpermute_b32 v18, v13, v18
	v_lshlrev_b32_e32 v21, 2, v17
	v_add_nc_u32_e32 v17, 12, v33
	v_add_nc_u32_e32 v22, 8, v33
	v_mov_b32_dpp v8, v23 quad_perm:[1,2,3,0] row_mask:0xf bank_mask:0xf
	v_mov_b32_dpp v6, v6 quad_perm:[3,0,1,2] row_mask:0xf bank_mask:0xf
	ds_bpermute_b32 v10, v21, v10
	v_and_b32_e32 v17, 31, v17
	v_and_b32_e32 v20, 31, v22
	v_add_nc_u32_e32 v22, 4, v33
	v_cndmask_b32_e64 v7, v29, v11, s1
	v_mov_b32_dpp v2, v2 quad_perm:[3,0,1,2] row_mask:0xf bank_mask:0xf
	v_lshlrev_b32_e32 v25, 2, v17
	v_lshlrev_b32_e32 v20, 2, v20
	v_cndmask_b32_e64 v1, v1, v11, s2
	v_mov_b32_dpp v11, v24 quad_perm:[1,2,3,0] row_mask:0xf bank_mask:0xf
	v_mov_b32_dpp v7, v7 quad_perm:[2,3,0,1] row_mask:0xf bank_mask:0xf
	ds_bpermute_b32 v16, v25, v16
	v_add_nc_u32_e32 v15, 24, v33
	v_lshrrev_b32_e32 v33, 2, v33
	ds_bpermute_b32 v11, v21, v11
	ds_bpermute_b32 v7, v25, v7
	;; [unrolled: 1-line block ×3, first 2 shown]
	v_mov_b32_dpp v5, v5 quad_perm:[3,0,1,2] row_mask:0xf bank_mask:0xf
	v_cmp_eq_u32_e32 vcc_lo, 1, v33
	v_cmp_eq_u32_e64 s0, 2, v33
	v_cmp_eq_u32_e64 s2, 3, v33
	v_cmp_eq_u32_e64 s3, 4, v33
	v_mov_b32_dpp v1, v1 quad_perm:[3,0,1,2] row_mask:0xf bank_mask:0xf
	s_waitcnt lgkmcnt(6)
	v_cndmask_b32_e32 v27, v3, v19, vcc_lo
	v_and_b32_e32 v17, 31, v22
	s_waitcnt lgkmcnt(5)
	v_dual_cndmask_b32 v23, v4, v18 :: v_dual_add_nc_u32 v22, -1, v33
	ds_bpermute_b32 v5, v20, v5
	v_lshlrev_b32_e32 v17, 2, v17
	v_and_b32_e32 v22, 7, v22
	ds_bpermute_b32 v2, v17, v2
	v_cmp_eq_u32_e64 s1, 1, v22
	v_cmp_eq_u32_e32 vcc_lo, 2, v22
	ds_bpermute_b32 v1, v17, v1
	v_cndmask_b32_e64 v24, v4, v18, s1
	v_and_b32_e32 v15, 31, v15
	s_delay_alu instid0(VALU_DEP_1)
	v_lshlrev_b32_e32 v15, 2, v15
	ds_bpermute_b32 v9, v15, v9
	ds_bpermute_b32 v8, v15, v8
	s_waitcnt lgkmcnt(1)
	v_cndmask_b32_e64 v23, v23, v9, s0
	v_cndmask_b32_e32 v24, v24, v9, vcc_lo
	s_delay_alu instid0(VALU_DEP_2) | instskip(NEXT) | instid1(VALU_DEP_1)
	v_cndmask_b32_e64 v23, v23, v11, s2
	v_cndmask_b32_e64 v34, v23, v14, s3
	s_waitcnt lgkmcnt(0)
	v_cndmask_b32_e64 v23, v27, v8, s0
	v_cmp_eq_u32_e64 s0, 3, v22
	v_cndmask_b32_e64 v27, v3, v19, s1
	v_cmp_eq_u32_e64 s1, 4, v22
	s_delay_alu instid0(VALU_DEP_4) | instskip(NEXT) | instid1(VALU_DEP_4)
	v_cndmask_b32_e64 v23, v23, v10, s2
	v_cndmask_b32_e64 v24, v24, v11, s0
	s_delay_alu instid0(VALU_DEP_4) | instskip(SKIP_1) | instid1(VALU_DEP_4)
	v_cndmask_b32_e32 v27, v27, v8, vcc_lo
	v_cmp_eq_u32_e32 vcc_lo, 5, v22
	v_cndmask_b32_e64 v35, v23, v12, s3
	s_delay_alu instid0(VALU_DEP_4) | instskip(NEXT) | instid1(VALU_DEP_1)
	v_cndmask_b32_e64 v24, v24, v14, s1
	v_cndmask_b32_e32 v23, v24, v16, vcc_lo
	v_cndmask_b32_e64 v24, v27, v10, s0
	v_cmp_eq_u32_e64 s2, 6, v22
	s_delay_alu instid0(VALU_DEP_2) | instskip(SKIP_1) | instid1(VALU_DEP_3)
	v_cndmask_b32_e64 v24, v24, v12, s1
	v_add_nc_u32_e32 v28, 6, v33
	v_cndmask_b32_e64 v23, v23, v6, s2
	s_delay_alu instid0(VALU_DEP_2) | instskip(NEXT) | instid1(VALU_DEP_1)
	v_and_b32_e32 v28, 7, v28
	v_cmp_eq_u32_e64 s0, 1, v28
	v_cmp_eq_u32_e64 s1, 2, v28
	s_delay_alu instid0(VALU_DEP_2) | instskip(SKIP_2) | instid1(VALU_DEP_3)
	v_cndmask_b32_e64 v27, v4, v18, s0
	v_cndmask_b32_e64 v29, v3, v19, s0
	v_cmp_eq_u32_e64 s0, 7, v22
	v_cndmask_b32_e64 v27, v27, v9, s1
	s_delay_alu instid0(VALU_DEP_2) | instskip(SKIP_2) | instid1(VALU_DEP_2)
	v_cndmask_b32_e64 v22, v23, v2, s0
	v_cndmask_b32_e32 v23, v24, v7, vcc_lo
	v_cmp_eq_u32_e32 vcc_lo, 3, v28
	v_cndmask_b32_e64 v23, v23, v5, s2
	v_cndmask_b32_e32 v24, v27, v11, vcc_lo
	v_cndmask_b32_e64 v27, v29, v8, s1
	v_add_nc_u32_e32 v29, 5, v33
	s_delay_alu instid0(VALU_DEP_4) | instskip(NEXT) | instid1(VALU_DEP_3)
	v_cndmask_b32_e64 v23, v23, v1, s0
	v_cndmask_b32_e32 v27, v27, v10, vcc_lo
	v_cmp_eq_u32_e64 s1, 4, v28
	s_delay_alu instid0(VALU_DEP_4) | instskip(SKIP_1) | instid1(VALU_DEP_3)
	v_and_b32_e32 v29, 7, v29
	v_cmp_eq_u32_e32 vcc_lo, 5, v28
	v_cndmask_b32_e64 v24, v24, v14, s1
	v_cndmask_b32_e64 v27, v27, v12, s1
	s_delay_alu instid0(VALU_DEP_4) | instskip(SKIP_2) | instid1(VALU_DEP_4)
	v_cmp_eq_u32_e64 s0, 1, v29
	v_cmp_eq_u32_e64 s1, 6, v28
	;; [unrolled: 1-line block ×3, first 2 shown]
	v_dual_cndmask_b32 v24, v24, v16 :: v_dual_cndmask_b32 v27, v27, v7
	s_delay_alu instid0(VALU_DEP_4) | instskip(SKIP_2) | instid1(VALU_DEP_4)
	v_cndmask_b32_e64 v30, v4, v18, s0
	v_cmp_eq_u32_e32 vcc_lo, 2, v29
	v_cndmask_b32_e64 v31, v3, v19, s0
	v_cndmask_b32_e64 v24, v24, v6, s1
	v_cmp_eq_u32_e64 s0, 7, v28
	v_cndmask_b32_e64 v27, v27, v5, s1
	v_cndmask_b32_e32 v30, v30, v9, vcc_lo
	v_cmp_eq_u32_e64 s1, 5, v29
	s_delay_alu instid0(VALU_DEP_4) | instskip(NEXT) | instid1(VALU_DEP_4)
	v_cndmask_b32_e64 v28, v24, v2, s0
	v_cndmask_b32_e64 v27, v27, v1, s0
	s_delay_alu instid0(VALU_DEP_4) | instskip(SKIP_3) | instid1(VALU_DEP_3)
	v_cndmask_b32_e64 v24, v30, v11, s2
	v_cndmask_b32_e32 v30, v31, v8, vcc_lo
	v_xor_b32_e32 v31, 4, v33
	v_cmp_eq_u32_e32 vcc_lo, 4, v29
	v_cndmask_b32_e64 v30, v30, v10, s2
	s_delay_alu instid0(VALU_DEP_3) | instskip(SKIP_1) | instid1(VALU_DEP_3)
	v_cmp_eq_u32_e64 s0, 1, v31
	v_dual_cndmask_b32 v24, v24, v14 :: v_dual_add_nc_u32 v39, 6, v31
	v_cndmask_b32_e32 v30, v30, v12, vcc_lo
	s_delay_alu instid0(VALU_DEP_3) | instskip(NEXT) | instid1(VALU_DEP_3)
	v_cndmask_b32_e64 v32, v4, v18, s0
	v_cndmask_b32_e64 v24, v24, v16, s1
	v_cmp_eq_u32_e32 vcc_lo, 2, v31
	v_cndmask_b32_e64 v36, v3, v19, s0
	v_cmp_eq_u32_e64 s0, 6, v29
	v_cndmask_b32_e64 v30, v30, v7, s1
	v_cmp_eq_u32_e64 s1, 3, v31
	v_cndmask_b32_e32 v32, v32, v9, vcc_lo
	v_cndmask_b32_e32 v36, v36, v8, vcc_lo
	v_cndmask_b32_e64 v24, v24, v6, s0
	v_cmp_eq_u32_e32 vcc_lo, 7, v29
	v_cndmask_b32_e64 v30, v30, v5, s0
	v_cndmask_b32_e64 v32, v32, v11, s1
	;; [unrolled: 1-line block ×3, first 2 shown]
	v_cmp_eq_u32_e64 s0, 4, v31
	v_dual_cndmask_b32 v29, v24, v2 :: v_dual_add_nc_u32 v24, -1, v31
	v_cndmask_b32_e32 v30, v30, v1, vcc_lo
	v_cmp_eq_u32_e32 vcc_lo, 5, v31
	s_delay_alu instid0(VALU_DEP_4) | instskip(SKIP_3) | instid1(VALU_DEP_4)
	v_cndmask_b32_e64 v32, v32, v14, s0
	v_cndmask_b32_e64 v36, v36, v12, s0
	v_and_b32_e32 v24, 7, v24
	v_cmp_eq_u32_e64 s1, 6, v31
	v_dual_cndmask_b32 v32, v32, v16 :: v_dual_and_b32 v39, 7, v39
	s_delay_alu instid0(VALU_DEP_4) | instskip(NEXT) | instid1(VALU_DEP_4)
	v_cndmask_b32_e32 v36, v36, v7, vcc_lo
	v_cmp_eq_u32_e64 s0, 1, v24
	v_cmp_eq_u32_e32 vcc_lo, 2, v24
	s_delay_alu instid0(VALU_DEP_4)
	v_cmp_eq_u32_e64 s2, 2, v39
	v_cndmask_b32_e64 v32, v32, v6, s1
	v_cndmask_b32_e64 v36, v36, v5, s1
	;; [unrolled: 1-line block ×4, first 2 shown]
	v_cmp_eq_u32_e64 s0, 3, v24
	v_cmp_eq_u32_e64 s1, 4, v24
	s_delay_alu instid0(VALU_DEP_3) | instskip(SKIP_2) | instid1(VALU_DEP_3)
	v_dual_cndmask_b32 v37, v37, v9 :: v_dual_cndmask_b32 v38, v38, v8
	v_cmp_eq_u32_e32 vcc_lo, 7, v31
	v_add_nc_u32_e32 v31, 5, v31
	v_cndmask_b32_e64 v37, v37, v11, s0
	s_delay_alu instid0(VALU_DEP_4)
	v_cndmask_b32_e64 v38, v38, v10, s0
	v_cndmask_b32_e32 v32, v32, v2, vcc_lo
	v_cmp_eq_u32_e64 s0, 6, v24
	v_and_b32_e32 v31, 7, v31
	v_cndmask_b32_e64 v37, v37, v14, s1
	v_cndmask_b32_e32 v36, v36, v1, vcc_lo
	v_cmp_eq_u32_e32 vcc_lo, 5, v24
	v_cndmask_b32_e64 v38, v38, v12, s1
	v_cmp_eq_u32_e64 s1, 7, v24
	s_delay_alu instid0(VALU_DEP_2)
	v_dual_cndmask_b32 v37, v37, v16 :: v_dual_cndmask_b32 v38, v38, v7
	v_cmp_eq_u32_e32 vcc_lo, 1, v39
	ds_bpermute_b32 v23, v17, v23
	v_cndmask_b32_e64 v37, v37, v6, s0
	v_cndmask_b32_e64 v24, v38, v5, s0
	v_cndmask_b32_e32 v40, v4, v18, vcc_lo
	v_cmp_eq_u32_e64 s0, 1, v31
	s_delay_alu instid0(VALU_DEP_4) | instskip(NEXT) | instid1(VALU_DEP_3)
	v_cndmask_b32_e64 v37, v37, v2, s1
	v_cndmask_b32_e64 v38, v40, v9, s2
	v_cndmask_b32_e32 v40, v3, v19, vcc_lo
	s_delay_alu instid0(VALU_DEP_4)
	v_cndmask_b32_e64 v4, v4, v18, s0
	v_cmp_eq_u32_e32 vcc_lo, 2, v31
	v_cndmask_b32_e64 v3, v3, v19, s0
	v_cmp_eq_u32_e64 s0, 3, v39
	v_cndmask_b32_e64 v19, v40, v8, s2
	v_cmp_eq_u32_e64 s2, 3, v31
	s_delay_alu instid0(VALU_DEP_4) | instskip(NEXT) | instid1(VALU_DEP_4)
	v_dual_cndmask_b32 v4, v4, v9 :: v_dual_cndmask_b32 v3, v3, v8
	v_cndmask_b32_e64 v18, v38, v11, s0
	v_cmp_eq_u32_e32 vcc_lo, 4, v39
	v_cndmask_b32_e64 v9, v19, v10, s0
	s_delay_alu instid0(VALU_DEP_4) | instskip(SKIP_2) | instid1(VALU_DEP_4)
	v_cndmask_b32_e64 v4, v4, v11, s2
	v_cmp_eq_u32_e64 s0, 4, v31
	v_cndmask_b32_e64 v3, v3, v10, s2
	v_dual_cndmask_b32 v8, v18, v14 :: v_dual_cndmask_b32 v9, v9, v12
	v_cmp_eq_u32_e32 vcc_lo, 5, v31
	s_delay_alu instid0(VALU_DEP_4) | instskip(NEXT) | instid1(VALU_DEP_4)
	v_cndmask_b32_e64 v4, v4, v14, s0
	v_cndmask_b32_e64 v3, v3, v12, s0
	;; [unrolled: 1-line block ×3, first 2 shown]
	ds_bpermute_b32 v24, v17, v22
	ds_bpermute_b32 v17, v20, v27
	v_cndmask_b32_e32 v4, v4, v16, vcc_lo
	v_cmp_eq_u32_e64 s2, 5, v39
	v_cmp_eq_u32_e64 s0, 6, v39
	v_cndmask_b32_e32 v3, v3, v7, vcc_lo
	v_cmp_eq_u32_e32 vcc_lo, 6, v31
	ds_bpermute_b32 v18, v20, v28
	v_cndmask_b32_e64 v8, v8, v16, s2
	v_cndmask_b32_e64 v9, v9, v7, s2
	ds_bpermute_b32 v19, v25, v30
	v_cndmask_b32_e32 v4, v4, v6, vcc_lo
	v_cmp_eq_u32_e64 s2, 7, v31
	v_cndmask_b32_e64 v8, v8, v6, s0
	v_cndmask_b32_e64 v9, v9, v5, s0
	v_cmp_eq_u32_e64 s0, 7, v39
	v_cndmask_b32_e32 v3, v3, v5, vcc_lo
	v_cndmask_b32_e64 v4, v4, v2, s2
	ds_bpermute_b32 v20, v25, v29
	ds_bpermute_b32 v25, v26, v36
	v_cndmask_b32_e64 v8, v8, v2, s0
	v_cndmask_b32_e64 v9, v9, v1, s0
	;; [unrolled: 1-line block ×3, first 2 shown]
	ds_bpermute_b32 v26, v26, v32
	ds_bpermute_b32 v27, v21, v10
	;; [unrolled: 1-line block ×5, first 2 shown]
	v_cmp_eq_u32_e32 vcc_lo, 5, v33
	ds_bpermute_b32 v31, v13, v3
	ds_bpermute_b32 v32, v13, v4
	v_dual_cndmask_b32 v4, v35, v7 :: v_dual_cndmask_b32 v3, v34, v16
	v_cmp_eq_u32_e32 vcc_lo, 6, v33
	s_delay_alu instid0(VALU_DEP_2) | instskip(SKIP_1) | instid1(VALU_DEP_2)
	v_dual_cndmask_b32 v3, v3, v6 :: v_dual_cndmask_b32 v4, v4, v5
	v_cmp_eq_u32_e32 vcc_lo, 7, v33
	v_dual_cndmask_b32 v22, v3, v2 :: v_dual_cndmask_b32 v21, v4, v1
.LBB32_4:
	v_lshlrev_b32_e32 v0, 3, v0
	s_waitcnt lgkmcnt(7)
	global_store_b128 v0, v[21:24], s[6:7]
	s_waitcnt lgkmcnt(3)
	global_store_b128 v0, v[17:20], s[6:7] offset:16
	s_waitcnt lgkmcnt(1)
	global_store_b128 v0, v[25:28], s[6:7] offset:32
	;; [unrolled: 2-line block ×3, first 2 shown]
	s_nop 0
	s_sendmsg sendmsg(MSG_DEALLOC_VGPRS)
	s_endpgm
	.section	.rodata,"a",@progbits
	.p2align	6, 0x0
	.amdhsa_kernel _Z20warp_exchange_kernelILj8ELj32EN6common25BlockedToStripedShuffleOpEdEvPT2_S3_b
		.amdhsa_group_segment_fixed_size 0
		.amdhsa_private_segment_fixed_size 0
		.amdhsa_kernarg_size 20
		.amdhsa_user_sgpr_count 15
		.amdhsa_user_sgpr_dispatch_ptr 0
		.amdhsa_user_sgpr_queue_ptr 0
		.amdhsa_user_sgpr_kernarg_segment_ptr 1
		.amdhsa_user_sgpr_dispatch_id 0
		.amdhsa_user_sgpr_private_segment_size 0
		.amdhsa_wavefront_size32 1
		.amdhsa_uses_dynamic_stack 0
		.amdhsa_enable_private_segment 0
		.amdhsa_system_sgpr_workgroup_id_x 1
		.amdhsa_system_sgpr_workgroup_id_y 0
		.amdhsa_system_sgpr_workgroup_id_z 0
		.amdhsa_system_sgpr_workgroup_info 0
		.amdhsa_system_vgpr_workitem_id 0
		.amdhsa_next_free_vgpr 58
		.amdhsa_next_free_sgpr 8
		.amdhsa_reserve_vcc 1
		.amdhsa_float_round_mode_32 0
		.amdhsa_float_round_mode_16_64 0
		.amdhsa_float_denorm_mode_32 3
		.amdhsa_float_denorm_mode_16_64 3
		.amdhsa_dx10_clamp 1
		.amdhsa_ieee_mode 1
		.amdhsa_fp16_overflow 0
		.amdhsa_workgroup_processor_mode 1
		.amdhsa_memory_ordered 1
		.amdhsa_forward_progress 0
		.amdhsa_shared_vgpr_count 0
		.amdhsa_exception_fp_ieee_invalid_op 0
		.amdhsa_exception_fp_denorm_src 0
		.amdhsa_exception_fp_ieee_div_zero 0
		.amdhsa_exception_fp_ieee_overflow 0
		.amdhsa_exception_fp_ieee_underflow 0
		.amdhsa_exception_fp_ieee_inexact 0
		.amdhsa_exception_int_div_zero 0
	.end_amdhsa_kernel
	.section	.text._Z20warp_exchange_kernelILj8ELj32EN6common25BlockedToStripedShuffleOpEdEvPT2_S3_b,"axG",@progbits,_Z20warp_exchange_kernelILj8ELj32EN6common25BlockedToStripedShuffleOpEdEvPT2_S3_b,comdat
.Lfunc_end32:
	.size	_Z20warp_exchange_kernelILj8ELj32EN6common25BlockedToStripedShuffleOpEdEvPT2_S3_b, .Lfunc_end32-_Z20warp_exchange_kernelILj8ELj32EN6common25BlockedToStripedShuffleOpEdEvPT2_S3_b
                                        ; -- End function
	.section	.AMDGPU.csdata,"",@progbits
; Kernel info:
; codeLenInByte = 6260
; NumSgprs: 10
; NumVgprs: 58
; ScratchSize: 0
; MemoryBound: 1
; FloatMode: 240
; IeeeMode: 1
; LDSByteSize: 0 bytes/workgroup (compile time only)
; SGPRBlocks: 1
; VGPRBlocks: 7
; NumSGPRsForWavesPerEU: 10
; NumVGPRsForWavesPerEU: 58
; Occupancy: 16
; WaveLimiterHint : 0
; COMPUTE_PGM_RSRC2:SCRATCH_EN: 0
; COMPUTE_PGM_RSRC2:USER_SGPR: 15
; COMPUTE_PGM_RSRC2:TRAP_HANDLER: 0
; COMPUTE_PGM_RSRC2:TGID_X_EN: 1
; COMPUTE_PGM_RSRC2:TGID_Y_EN: 0
; COMPUTE_PGM_RSRC2:TGID_Z_EN: 0
; COMPUTE_PGM_RSRC2:TIDIG_COMP_CNT: 0
	.section	.text._Z20warp_exchange_kernelILj16ELj64EN6common25BlockedToStripedShuffleOpEfEvPT2_S3_b,"axG",@progbits,_Z20warp_exchange_kernelILj16ELj64EN6common25BlockedToStripedShuffleOpEfEvPT2_S3_b,comdat
	.protected	_Z20warp_exchange_kernelILj16ELj64EN6common25BlockedToStripedShuffleOpEfEvPT2_S3_b ; -- Begin function _Z20warp_exchange_kernelILj16ELj64EN6common25BlockedToStripedShuffleOpEfEvPT2_S3_b
	.globl	_Z20warp_exchange_kernelILj16ELj64EN6common25BlockedToStripedShuffleOpEfEvPT2_S3_b
	.p2align	8
	.type	_Z20warp_exchange_kernelILj16ELj64EN6common25BlockedToStripedShuffleOpEfEvPT2_S3_b,@function
_Z20warp_exchange_kernelILj16ELj64EN6common25BlockedToStripedShuffleOpEfEvPT2_S3_b: ; @_Z20warp_exchange_kernelILj16ELj64EN6common25BlockedToStripedShuffleOpEfEvPT2_S3_b
; %bb.0:
	s_endpgm
	.section	.rodata,"a",@progbits
	.p2align	6, 0x0
	.amdhsa_kernel _Z20warp_exchange_kernelILj16ELj64EN6common25BlockedToStripedShuffleOpEfEvPT2_S3_b
		.amdhsa_group_segment_fixed_size 0
		.amdhsa_private_segment_fixed_size 0
		.amdhsa_kernarg_size 20
		.amdhsa_user_sgpr_count 15
		.amdhsa_user_sgpr_dispatch_ptr 0
		.amdhsa_user_sgpr_queue_ptr 0
		.amdhsa_user_sgpr_kernarg_segment_ptr 1
		.amdhsa_user_sgpr_dispatch_id 0
		.amdhsa_user_sgpr_private_segment_size 0
		.amdhsa_wavefront_size32 1
		.amdhsa_uses_dynamic_stack 0
		.amdhsa_enable_private_segment 0
		.amdhsa_system_sgpr_workgroup_id_x 1
		.amdhsa_system_sgpr_workgroup_id_y 0
		.amdhsa_system_sgpr_workgroup_id_z 0
		.amdhsa_system_sgpr_workgroup_info 0
		.amdhsa_system_vgpr_workitem_id 0
		.amdhsa_next_free_vgpr 1
		.amdhsa_next_free_sgpr 1
		.amdhsa_reserve_vcc 0
		.amdhsa_float_round_mode_32 0
		.amdhsa_float_round_mode_16_64 0
		.amdhsa_float_denorm_mode_32 3
		.amdhsa_float_denorm_mode_16_64 3
		.amdhsa_dx10_clamp 1
		.amdhsa_ieee_mode 1
		.amdhsa_fp16_overflow 0
		.amdhsa_workgroup_processor_mode 1
		.amdhsa_memory_ordered 1
		.amdhsa_forward_progress 0
		.amdhsa_shared_vgpr_count 0
		.amdhsa_exception_fp_ieee_invalid_op 0
		.amdhsa_exception_fp_denorm_src 0
		.amdhsa_exception_fp_ieee_div_zero 0
		.amdhsa_exception_fp_ieee_overflow 0
		.amdhsa_exception_fp_ieee_underflow 0
		.amdhsa_exception_fp_ieee_inexact 0
		.amdhsa_exception_int_div_zero 0
	.end_amdhsa_kernel
	.section	.text._Z20warp_exchange_kernelILj16ELj64EN6common25BlockedToStripedShuffleOpEfEvPT2_S3_b,"axG",@progbits,_Z20warp_exchange_kernelILj16ELj64EN6common25BlockedToStripedShuffleOpEfEvPT2_S3_b,comdat
.Lfunc_end33:
	.size	_Z20warp_exchange_kernelILj16ELj64EN6common25BlockedToStripedShuffleOpEfEvPT2_S3_b, .Lfunc_end33-_Z20warp_exchange_kernelILj16ELj64EN6common25BlockedToStripedShuffleOpEfEvPT2_S3_b
                                        ; -- End function
	.section	.AMDGPU.csdata,"",@progbits
; Kernel info:
; codeLenInByte = 4
; NumSgprs: 0
; NumVgprs: 0
; ScratchSize: 0
; MemoryBound: 0
; FloatMode: 240
; IeeeMode: 1
; LDSByteSize: 0 bytes/workgroup (compile time only)
; SGPRBlocks: 0
; VGPRBlocks: 0
; NumSGPRsForWavesPerEU: 1
; NumVGPRsForWavesPerEU: 1
; Occupancy: 16
; WaveLimiterHint : 0
; COMPUTE_PGM_RSRC2:SCRATCH_EN: 0
; COMPUTE_PGM_RSRC2:USER_SGPR: 15
; COMPUTE_PGM_RSRC2:TRAP_HANDLER: 0
; COMPUTE_PGM_RSRC2:TGID_X_EN: 1
; COMPUTE_PGM_RSRC2:TGID_Y_EN: 0
; COMPUTE_PGM_RSRC2:TGID_Z_EN: 0
; COMPUTE_PGM_RSRC2:TIDIG_COMP_CNT: 0
	.section	.text._Z20warp_exchange_kernelILj8ELj8EN6common25BlockedToStripedShuffleOpE12hip_bfloat16EvPT2_S4_b,"axG",@progbits,_Z20warp_exchange_kernelILj8ELj8EN6common25BlockedToStripedShuffleOpE12hip_bfloat16EvPT2_S4_b,comdat
	.protected	_Z20warp_exchange_kernelILj8ELj8EN6common25BlockedToStripedShuffleOpE12hip_bfloat16EvPT2_S4_b ; -- Begin function _Z20warp_exchange_kernelILj8ELj8EN6common25BlockedToStripedShuffleOpE12hip_bfloat16EvPT2_S4_b
	.globl	_Z20warp_exchange_kernelILj8ELj8EN6common25BlockedToStripedShuffleOpE12hip_bfloat16EvPT2_S4_b
	.p2align	8
	.type	_Z20warp_exchange_kernelILj8ELj8EN6common25BlockedToStripedShuffleOpE12hip_bfloat16EvPT2_S4_b,@function
_Z20warp_exchange_kernelILj8ELj8EN6common25BlockedToStripedShuffleOpE12hip_bfloat16EvPT2_S4_b: ; @_Z20warp_exchange_kernelILj8ELj8EN6common25BlockedToStripedShuffleOpE12hip_bfloat16EvPT2_S4_b
; %bb.0:
	s_load_b128 s[4:7], s[2:3], 0x0
	v_and_b32_e32 v5, 0x3ff, v0
	s_load_b64 s[0:1], s[0:1], 0x4
	s_load_b32 s2, s[2:3], 0x10
	v_bfe_u32 v6, v0, 10, 10
	v_mbcnt_lo_u32_b32 v7, -1, 0
	v_lshlrev_b32_e32 v1, 4, v5
	v_bfe_u32 v0, v0, 20, 10
	s_delay_alu instid0(VALU_DEP_3) | instskip(SKIP_1) | instid1(VALU_DEP_2)
	v_and_b32_e32 v9, 4, v7
	v_and_b32_e32 v11, 2, v7
	v_lshlrev_b32_e32 v10, 1, v9
	v_cmp_eq_u32_e32 vcc_lo, 0, v9
	s_delay_alu instid0(VALU_DEP_2)
	v_xor_b32_e32 v15, 8, v10
	s_waitcnt lgkmcnt(0)
	global_load_b128 v[1:4], v1, s[4:5]
	s_lshr_b32 s0, s0, 16
	v_mul_u32_u24_e32 v6, s1, v6
	s_mul_i32 s0, s0, s1
	v_cndmask_b32_e64 v14, 2, 10, vcc_lo
	v_mul_lo_u32 v8, s0, v5
	v_cndmask_b32_e64 v13, 4, 12, vcc_lo
	v_cndmask_b32_e64 v12, 6, 14, vcc_lo
	v_and_b32_e32 v10, 1, v7
	s_and_b32 s0, s2, 1
	s_delay_alu instid0(SALU_CYCLE_1) | instskip(SKIP_1) | instid1(VALU_DEP_4)
	s_cmp_eq_u32 s0, 0
	s_mov_b32 s0, -1
	v_add3_u32 v6, v8, v6, v0
	v_lshlrev_b32_e32 v0, 3, v5
	s_delay_alu instid0(VALU_DEP_2)
	v_lshlrev_b32_e32 v9, 4, v6
	s_cbranch_scc0 .LBB34_2
; %bb.1:
	s_delay_alu instid0(VALU_DEP_1)
	v_or_b32_e32 v5, v9, v15
	s_waitcnt vmcnt(0)
	ds_store_b128 v9, v[1:4]
	v_or_b32_e32 v7, v9, v14
	v_cmp_eq_u32_e32 vcc_lo, 0, v11
	ds_load_u16 v6, v5
	v_cndmask_b32_e64 v17, 8, 12, vcc_lo
	v_cndmask_b32_e64 v16, 2, 6, vcc_lo
	s_delay_alu instid0(VALU_DEP_2)
	v_or_b32_e32 v17, v9, v17
	s_waitcnt lgkmcnt(0)
	ds_swizzle_b32 v6, v6 offset:swizzle(SWAP,4)
	s_waitcnt lgkmcnt(0)
	ds_store_b16 v5, v6
	ds_load_u16 v5, v7
	v_or_b32_e32 v6, v9, v13
	s_waitcnt lgkmcnt(0)
	ds_swizzle_b32 v5, v5 offset:swizzle(SWAP,4)
	s_waitcnt lgkmcnt(0)
	ds_store_b16 v7, v5
	ds_load_u16 v5, v6
	;; [unrolled: 6-line block ×3, first 2 shown]
	v_lshlrev_b32_e32 v6, 1, v11
	s_delay_alu instid0(VALU_DEP_1) | instskip(NEXT) | instid1(VALU_DEP_1)
	v_xor_b32_e32 v6, 4, v6
	v_or_b32_e32 v6, v9, v6
	ds_load_u16 v8, v6
	s_waitcnt lgkmcnt(1)
	ds_swizzle_b32 v5, v5 offset:swizzle(SWAP,4)
	s_waitcnt lgkmcnt(1)
	ds_swizzle_b32 v8, v8 offset:swizzle(SWAP,2)
	s_waitcnt lgkmcnt(1)
	ds_store_b16 v7, v5
	ds_load_u16 v5, v17
	v_or_b32_e32 v7, v9, v16
	v_lshlrev_b32_e32 v16, 1, v10
	s_delay_alu instid0(VALU_DEP_1) | instskip(NEXT) | instid1(VALU_DEP_1)
	v_xor_b32_e32 v16, 2, v16
	v_or_b32_e32 v16, v9, v16
	s_waitcnt lgkmcnt(2)
	ds_store_b16 v6, v8
	v_cndmask_b32_e64 v8, 10, 14, vcc_lo
	ds_load_u16 v6, v7
	v_cmp_eq_u32_e32 vcc_lo, 0, v10
	s_waitcnt lgkmcnt(2)
	ds_swizzle_b32 v5, v5 offset:swizzle(SWAP,2)
	v_or_b32_e32 v8, v9, v8
	v_cndmask_b32_e64 v18, 8, 10, vcc_lo
	v_cndmask_b32_e64 v19, 12, 14, vcc_lo
	s_delay_alu instid0(VALU_DEP_2) | instskip(NEXT) | instid1(VALU_DEP_2)
	v_or_b32_e32 v18, v9, v18
	v_or_b32_e32 v19, v9, v19
	s_waitcnt lgkmcnt(0)
	ds_store_b16 v17, v5
	ds_load_u16 v5, v8
	ds_swizzle_b32 v6, v6 offset:swizzle(SWAP,2)
	v_cndmask_b32_e64 v17, 4, 6, vcc_lo
	s_delay_alu instid0(VALU_DEP_1)
	v_or_b32_e32 v17, v9, v17
	s_waitcnt lgkmcnt(1)
	ds_swizzle_b32 v5, v5 offset:swizzle(SWAP,2)
	s_waitcnt lgkmcnt(1)
	ds_store_b16 v7, v6
	ds_load_u16 v6, v16
	ds_load_u16 v7, v17
	s_waitcnt lgkmcnt(3)
	ds_store_b16 v8, v5
	ds_load_u16 v5, v18
	ds_load_u16 v8, v19
	s_waitcnt lgkmcnt(4)
	ds_swizzle_b32 v6, v6 offset:swizzle(SWAP,1)
	s_waitcnt lgkmcnt(4)
	ds_swizzle_b32 v7, v7 offset:swizzle(SWAP,1)
	s_waitcnt lgkmcnt(3)
	ds_swizzle_b32 v5, v5 offset:swizzle(SWAP,1)
	s_waitcnt lgkmcnt(3)
	ds_swizzle_b32 v8, v8 offset:swizzle(SWAP,1)
	s_waitcnt lgkmcnt(3)
	ds_store_b16 v16, v6
	s_waitcnt lgkmcnt(3)
	ds_store_b16 v17, v7
	;; [unrolled: 2-line block ×4, first 2 shown]
	ds_load_b128 v[5:8], v9
	s_cbranch_execz .LBB34_3
	s_branch .LBB34_4
.LBB34_2:
                                        ; implicit-def: $vgpr8
	s_and_not1_b32 vcc_lo, exec_lo, s0
	s_cbranch_vccnz .LBB34_4
.LBB34_3:
	s_waitcnt lgkmcnt(0)
	v_add_nc_u32_e32 v5, 0x4000, v9
	s_waitcnt vmcnt(0)
	ds_store_b128 v9, v[1:4] offset:16384
	v_cmp_eq_u32_e32 vcc_lo, 0, v11
	v_or_b32_e32 v6, v5, v15
	v_or_b32_e32 v2, v5, v14
	;; [unrolled: 1-line block ×3, first 2 shown]
	v_cndmask_b32_e64 v7, 8, 12, vcc_lo
	ds_load_u16 v1, v6
	v_or_b32_e32 v7, v5, v7
	s_waitcnt lgkmcnt(0)
	ds_swizzle_b32 v1, v1 offset:swizzle(SWAP,4)
	s_waitcnt lgkmcnt(0)
	ds_store_b16 v6, v1
	ds_load_u16 v1, v2
	v_cndmask_b32_e64 v6, 2, 6, vcc_lo
	s_waitcnt lgkmcnt(0)
	ds_swizzle_b32 v1, v1 offset:swizzle(SWAP,4)
	s_waitcnt lgkmcnt(0)
	ds_store_b16 v2, v1
	ds_load_u16 v1, v3
	v_or_b32_e32 v2, v5, v12
	s_waitcnt lgkmcnt(0)
	ds_swizzle_b32 v1, v1 offset:swizzle(SWAP,4)
	s_waitcnt lgkmcnt(0)
	ds_store_b16 v3, v1
	ds_load_u16 v1, v2
	v_lshlrev_b32_e32 v3, 1, v11
	s_delay_alu instid0(VALU_DEP_1) | instskip(NEXT) | instid1(VALU_DEP_1)
	v_xor_b32_e32 v3, 4, v3
	v_or_b32_e32 v3, v5, v3
	ds_load_u16 v4, v3
	s_waitcnt lgkmcnt(1)
	ds_swizzle_b32 v1, v1 offset:swizzle(SWAP,4)
	s_waitcnt lgkmcnt(1)
	ds_swizzle_b32 v4, v4 offset:swizzle(SWAP,2)
	s_waitcnt lgkmcnt(1)
	ds_store_b16 v2, v1
	ds_load_u16 v1, v7
	v_or_b32_e32 v2, v5, v6
	v_lshlrev_b32_e32 v6, 1, v10
	s_delay_alu instid0(VALU_DEP_1) | instskip(NEXT) | instid1(VALU_DEP_1)
	v_xor_b32_e32 v6, 2, v6
	v_or_b32_e32 v6, v5, v6
	s_waitcnt lgkmcnt(0)
	ds_swizzle_b32 v1, v1 offset:swizzle(SWAP,2)
	ds_store_b16 v3, v4
	v_cndmask_b32_e64 v4, 10, 14, vcc_lo
	ds_load_u16 v3, v2
	v_cmp_eq_u32_e32 vcc_lo, 0, v10
	v_or_b32_e32 v4, v5, v4
	v_cndmask_b32_e64 v8, 8, 10, vcc_lo
	v_cndmask_b32_e64 v10, 12, 14, vcc_lo
	s_delay_alu instid0(VALU_DEP_2)
	v_or_b32_e32 v8, v5, v8
	s_waitcnt lgkmcnt(2)
	ds_store_b16 v7, v1
	ds_load_u16 v1, v4
	v_cndmask_b32_e64 v7, 4, 6, vcc_lo
	s_waitcnt lgkmcnt(2)
	ds_swizzle_b32 v3, v3 offset:swizzle(SWAP,2)
	v_or_b32_e32 v7, v5, v7
	v_or_b32_e32 v5, v5, v10
	s_waitcnt lgkmcnt(1)
	ds_swizzle_b32 v1, v1 offset:swizzle(SWAP,2)
	s_waitcnt lgkmcnt(1)
	ds_store_b16 v2, v3
	ds_load_u16 v2, v6
	ds_load_u16 v3, v7
	s_waitcnt lgkmcnt(3)
	ds_store_b16 v4, v1
	ds_load_u16 v1, v8
	ds_load_u16 v4, v5
	s_waitcnt lgkmcnt(4)
	ds_swizzle_b32 v2, v2 offset:swizzle(SWAP,1)
	s_waitcnt lgkmcnt(4)
	ds_swizzle_b32 v3, v3 offset:swizzle(SWAP,1)
	;; [unrolled: 2-line block ×4, first 2 shown]
	s_waitcnt lgkmcnt(3)
	ds_store_b16 v6, v2
	s_waitcnt lgkmcnt(3)
	ds_store_b16 v7, v3
	s_waitcnt lgkmcnt(3)
	ds_store_b16 v8, v1
	s_waitcnt lgkmcnt(3)
	ds_store_b16 v5, v4
	ds_load_b128 v[5:8], v9 offset:16384
.LBB34_4:
	v_lshlrev_b32_e32 v0, 1, v0
	s_waitcnt lgkmcnt(0)
	global_store_b128 v0, v[5:8], s[6:7]
	s_nop 0
	s_sendmsg sendmsg(MSG_DEALLOC_VGPRS)
	s_endpgm
	.section	.rodata,"a",@progbits
	.p2align	6, 0x0
	.amdhsa_kernel _Z20warp_exchange_kernelILj8ELj8EN6common25BlockedToStripedShuffleOpE12hip_bfloat16EvPT2_S4_b
		.amdhsa_group_segment_fixed_size 32768
		.amdhsa_private_segment_fixed_size 0
		.amdhsa_kernarg_size 20
		.amdhsa_user_sgpr_count 15
		.amdhsa_user_sgpr_dispatch_ptr 1
		.amdhsa_user_sgpr_queue_ptr 0
		.amdhsa_user_sgpr_kernarg_segment_ptr 1
		.amdhsa_user_sgpr_dispatch_id 0
		.amdhsa_user_sgpr_private_segment_size 0
		.amdhsa_wavefront_size32 1
		.amdhsa_uses_dynamic_stack 0
		.amdhsa_enable_private_segment 0
		.amdhsa_system_sgpr_workgroup_id_x 1
		.amdhsa_system_sgpr_workgroup_id_y 0
		.amdhsa_system_sgpr_workgroup_id_z 0
		.amdhsa_system_sgpr_workgroup_info 0
		.amdhsa_system_vgpr_workitem_id 2
		.amdhsa_next_free_vgpr 20
		.amdhsa_next_free_sgpr 8
		.amdhsa_reserve_vcc 1
		.amdhsa_float_round_mode_32 0
		.amdhsa_float_round_mode_16_64 0
		.amdhsa_float_denorm_mode_32 3
		.amdhsa_float_denorm_mode_16_64 3
		.amdhsa_dx10_clamp 1
		.amdhsa_ieee_mode 1
		.amdhsa_fp16_overflow 0
		.amdhsa_workgroup_processor_mode 1
		.amdhsa_memory_ordered 1
		.amdhsa_forward_progress 0
		.amdhsa_shared_vgpr_count 0
		.amdhsa_exception_fp_ieee_invalid_op 0
		.amdhsa_exception_fp_denorm_src 0
		.amdhsa_exception_fp_ieee_div_zero 0
		.amdhsa_exception_fp_ieee_overflow 0
		.amdhsa_exception_fp_ieee_underflow 0
		.amdhsa_exception_fp_ieee_inexact 0
		.amdhsa_exception_int_div_zero 0
	.end_amdhsa_kernel
	.section	.text._Z20warp_exchange_kernelILj8ELj8EN6common25BlockedToStripedShuffleOpE12hip_bfloat16EvPT2_S4_b,"axG",@progbits,_Z20warp_exchange_kernelILj8ELj8EN6common25BlockedToStripedShuffleOpE12hip_bfloat16EvPT2_S4_b,comdat
.Lfunc_end34:
	.size	_Z20warp_exchange_kernelILj8ELj8EN6common25BlockedToStripedShuffleOpE12hip_bfloat16EvPT2_S4_b, .Lfunc_end34-_Z20warp_exchange_kernelILj8ELj8EN6common25BlockedToStripedShuffleOpE12hip_bfloat16EvPT2_S4_b
                                        ; -- End function
	.section	.AMDGPU.csdata,"",@progbits
; Kernel info:
; codeLenInByte = 1320
; NumSgprs: 10
; NumVgprs: 20
; ScratchSize: 0
; MemoryBound: 0
; FloatMode: 240
; IeeeMode: 1
; LDSByteSize: 32768 bytes/workgroup (compile time only)
; SGPRBlocks: 1
; VGPRBlocks: 2
; NumSGPRsForWavesPerEU: 10
; NumVGPRsForWavesPerEU: 20
; Occupancy: 16
; WaveLimiterHint : 0
; COMPUTE_PGM_RSRC2:SCRATCH_EN: 0
; COMPUTE_PGM_RSRC2:USER_SGPR: 15
; COMPUTE_PGM_RSRC2:TRAP_HANDLER: 0
; COMPUTE_PGM_RSRC2:TGID_X_EN: 1
; COMPUTE_PGM_RSRC2:TGID_Y_EN: 0
; COMPUTE_PGM_RSRC2:TGID_Z_EN: 0
; COMPUTE_PGM_RSRC2:TIDIG_COMP_CNT: 2
	.section	.text._Z20warp_exchange_kernelILj64ELj64EN6common25BlockedToStripedShuffleOpEdEvPT2_S3_b,"axG",@progbits,_Z20warp_exchange_kernelILj64ELj64EN6common25BlockedToStripedShuffleOpEdEvPT2_S3_b,comdat
	.protected	_Z20warp_exchange_kernelILj64ELj64EN6common25BlockedToStripedShuffleOpEdEvPT2_S3_b ; -- Begin function _Z20warp_exchange_kernelILj64ELj64EN6common25BlockedToStripedShuffleOpEdEvPT2_S3_b
	.globl	_Z20warp_exchange_kernelILj64ELj64EN6common25BlockedToStripedShuffleOpEdEvPT2_S3_b
	.p2align	8
	.type	_Z20warp_exchange_kernelILj64ELj64EN6common25BlockedToStripedShuffleOpEdEvPT2_S3_b,@function
_Z20warp_exchange_kernelILj64ELj64EN6common25BlockedToStripedShuffleOpEdEvPT2_S3_b: ; @_Z20warp_exchange_kernelILj64ELj64EN6common25BlockedToStripedShuffleOpEdEvPT2_S3_b
; %bb.0:
	s_endpgm
	.section	.rodata,"a",@progbits
	.p2align	6, 0x0
	.amdhsa_kernel _Z20warp_exchange_kernelILj64ELj64EN6common25BlockedToStripedShuffleOpEdEvPT2_S3_b
		.amdhsa_group_segment_fixed_size 0
		.amdhsa_private_segment_fixed_size 0
		.amdhsa_kernarg_size 20
		.amdhsa_user_sgpr_count 15
		.amdhsa_user_sgpr_dispatch_ptr 0
		.amdhsa_user_sgpr_queue_ptr 0
		.amdhsa_user_sgpr_kernarg_segment_ptr 1
		.amdhsa_user_sgpr_dispatch_id 0
		.amdhsa_user_sgpr_private_segment_size 0
		.amdhsa_wavefront_size32 1
		.amdhsa_uses_dynamic_stack 0
		.amdhsa_enable_private_segment 0
		.amdhsa_system_sgpr_workgroup_id_x 1
		.amdhsa_system_sgpr_workgroup_id_y 0
		.amdhsa_system_sgpr_workgroup_id_z 0
		.amdhsa_system_sgpr_workgroup_info 0
		.amdhsa_system_vgpr_workitem_id 0
		.amdhsa_next_free_vgpr 1
		.amdhsa_next_free_sgpr 1
		.amdhsa_reserve_vcc 0
		.amdhsa_float_round_mode_32 0
		.amdhsa_float_round_mode_16_64 0
		.amdhsa_float_denorm_mode_32 3
		.amdhsa_float_denorm_mode_16_64 3
		.amdhsa_dx10_clamp 1
		.amdhsa_ieee_mode 1
		.amdhsa_fp16_overflow 0
		.amdhsa_workgroup_processor_mode 1
		.amdhsa_memory_ordered 1
		.amdhsa_forward_progress 0
		.amdhsa_shared_vgpr_count 0
		.amdhsa_exception_fp_ieee_invalid_op 0
		.amdhsa_exception_fp_denorm_src 0
		.amdhsa_exception_fp_ieee_div_zero 0
		.amdhsa_exception_fp_ieee_overflow 0
		.amdhsa_exception_fp_ieee_underflow 0
		.amdhsa_exception_fp_ieee_inexact 0
		.amdhsa_exception_int_div_zero 0
	.end_amdhsa_kernel
	.section	.text._Z20warp_exchange_kernelILj64ELj64EN6common25BlockedToStripedShuffleOpEdEvPT2_S3_b,"axG",@progbits,_Z20warp_exchange_kernelILj64ELj64EN6common25BlockedToStripedShuffleOpEdEvPT2_S3_b,comdat
.Lfunc_end35:
	.size	_Z20warp_exchange_kernelILj64ELj64EN6common25BlockedToStripedShuffleOpEdEvPT2_S3_b, .Lfunc_end35-_Z20warp_exchange_kernelILj64ELj64EN6common25BlockedToStripedShuffleOpEdEvPT2_S3_b
                                        ; -- End function
	.section	.AMDGPU.csdata,"",@progbits
; Kernel info:
; codeLenInByte = 4
; NumSgprs: 0
; NumVgprs: 0
; ScratchSize: 0
; MemoryBound: 0
; FloatMode: 240
; IeeeMode: 1
; LDSByteSize: 0 bytes/workgroup (compile time only)
; SGPRBlocks: 0
; VGPRBlocks: 0
; NumSGPRsForWavesPerEU: 1
; NumVGPRsForWavesPerEU: 1
; Occupancy: 16
; WaveLimiterHint : 0
; COMPUTE_PGM_RSRC2:SCRATCH_EN: 0
; COMPUTE_PGM_RSRC2:USER_SGPR: 15
; COMPUTE_PGM_RSRC2:TRAP_HANDLER: 0
; COMPUTE_PGM_RSRC2:TGID_X_EN: 1
; COMPUTE_PGM_RSRC2:TGID_Y_EN: 0
; COMPUTE_PGM_RSRC2:TGID_Z_EN: 0
; COMPUTE_PGM_RSRC2:TIDIG_COMP_CNT: 0
	.section	.text._Z20warp_exchange_kernelILj32ELj32EN6common25BlockedToStripedShuffleOpEfEvPT2_S3_b,"axG",@progbits,_Z20warp_exchange_kernelILj32ELj32EN6common25BlockedToStripedShuffleOpEfEvPT2_S3_b,comdat
	.protected	_Z20warp_exchange_kernelILj32ELj32EN6common25BlockedToStripedShuffleOpEfEvPT2_S3_b ; -- Begin function _Z20warp_exchange_kernelILj32ELj32EN6common25BlockedToStripedShuffleOpEfEvPT2_S3_b
	.globl	_Z20warp_exchange_kernelILj32ELj32EN6common25BlockedToStripedShuffleOpEfEvPT2_S3_b
	.p2align	8
	.type	_Z20warp_exchange_kernelILj32ELj32EN6common25BlockedToStripedShuffleOpEfEvPT2_S3_b,@function
_Z20warp_exchange_kernelILj32ELj32EN6common25BlockedToStripedShuffleOpEfEvPT2_S3_b: ; @_Z20warp_exchange_kernelILj32ELj32EN6common25BlockedToStripedShuffleOpEfEvPT2_S3_b
; %bb.0:
	s_load_b128 s[4:7], s[0:1], 0x0
	v_lshlrev_b32_e32 v1, 7, v0
	s_load_b32 s0, s[0:1], 0x10
	v_lshlrev_b32_e32 v0, 5, v0
	v_mbcnt_lo_u32_b32 v65, -1, 0
	s_mov_b32 s3, 0
	s_waitcnt lgkmcnt(0)
	s_clause 0x7
	global_load_b128 v[29:32], v1, s[4:5]
	global_load_b128 v[25:28], v1, s[4:5] offset:16
	global_load_b128 v[21:24], v1, s[4:5] offset:32
	;; [unrolled: 1-line block ×7, first 2 shown]
	s_bitcmp0_b32 s0, 0
	s_cbranch_scc0 .LBB36_2
; %bb.1:
	v_and_b32_e32 v33, 16, v65
	s_waitcnt vmcnt(7)
	scratch_store_b128 off, v[29:32], off
	s_waitcnt vmcnt(6)
	scratch_store_b128 off, v[25:28], off offset:16
	s_waitcnt vmcnt(5)
	scratch_store_b128 off, v[21:24], off offset:32
	;; [unrolled: 2-line block ×4, first 2 shown]
	v_mov_b32_e32 v41, 0x68
	v_mov_b32_e32 v47, 0x74
	;; [unrolled: 1-line block ×3, first 2 shown]
	v_lshlrev_b32_e32 v34, 2, v33
	v_cmp_eq_u32_e32 vcc_lo, 0, v33
	s_delay_alu instid0(VALU_DEP_2)
	v_xor_b32_e32 v34, 64, v34
	v_cndmask_b32_e64 v33, 4, 0x44, vcc_lo
	v_cndmask_b32_e64 v38, 40, 0x68, vcc_lo
	;; [unrolled: 1-line block ×3, first 2 shown]
	scratch_load_b32 v35, v34, off
	s_waitcnt vmcnt(0)
	ds_swizzle_b32 v35, v35 offset:swizzle(SWAP,16)
	s_waitcnt lgkmcnt(0)
	scratch_store_b32 v34, v35, off
	scratch_load_b32 v34, v33, off
	v_cndmask_b32_e64 v35, 8, 0x48, vcc_lo
	s_waitcnt vmcnt(0)
	ds_swizzle_b32 v34, v34 offset:swizzle(SWAP,16)
	s_waitcnt lgkmcnt(0)
	scratch_store_b32 v33, v34, off
	scratch_load_b32 v33, v35, off
	v_cndmask_b32_e64 v34, 12, 0x4c, vcc_lo
	;; [unrolled: 6-line block ×3, first 2 shown]
	s_waitcnt vmcnt(0)
	ds_swizzle_b32 v33, v33 offset:swizzle(SWAP,16)
	scratch_store_b128 off, v[9:12], off offset:80
	s_waitcnt lgkmcnt(0)
	scratch_store_b32 v34, v33, off
	scratch_load_b32 v33, v35, off
	v_cndmask_b32_e64 v34, 20, 0x54, vcc_lo
	s_waitcnt vmcnt(0)
	ds_swizzle_b32 v33, v33 offset:swizzle(SWAP,16)
	s_waitcnt lgkmcnt(0)
	scratch_store_b32 v35, v33, off
	scratch_load_b32 v33, v34, off
	v_cndmask_b32_e64 v35, 24, 0x58, vcc_lo
	s_waitcnt vmcnt(0)
	ds_swizzle_b32 v33, v33 offset:swizzle(SWAP,16)
	;; [unrolled: 6-line block ×4, first 2 shown]
	scratch_store_b128 off, v[5:8], off offset:96
	s_waitcnt lgkmcnt(0)
	scratch_store_b32 v34, v33, off
	scratch_load_b32 v33, v35, off
	v_cndmask_b32_e64 v34, 36, 0x64, vcc_lo
	s_waitcnt vmcnt(0)
	ds_swizzle_b32 v33, v33 offset:swizzle(SWAP,16)
	s_waitcnt lgkmcnt(0)
	scratch_store_b32 v35, v33, off
	scratch_load_b32 v33, v34, off
	v_and_b32_e32 v35, 8, v65
	s_delay_alu instid0(VALU_DEP_1) | instskip(SKIP_1) | instid1(VALU_DEP_2)
	v_lshlrev_b32_e32 v36, 2, v35
	v_cmp_eq_u32_e64 s0, 0, v35
	v_xor_b32_e32 v36, 32, v36
	s_delay_alu instid0(VALU_DEP_2)
	v_cndmask_b32_e64 v39, 20, 52, s0
	v_cndmask_b32_e64 v42, 0x48, v41, s0
	;; [unrolled: 1-line block ×3, first 2 shown]
	scratch_load_b32 v37, v36, off
	s_waitcnt vmcnt(1)
	ds_swizzle_b32 v33, v33 offset:swizzle(SWAP,16)
	s_waitcnt vmcnt(0)
	ds_swizzle_b32 v37, v37 offset:swizzle(SWAP,8)
	s_waitcnt lgkmcnt(1)
	scratch_store_b32 v34, v33, off
	scratch_load_b32 v33, v38, off
	v_cndmask_b32_e64 v34, 4, 36, s0
	s_waitcnt vmcnt(0)
	ds_swizzle_b32 v33, v33 offset:swizzle(SWAP,16)
	s_waitcnt lgkmcnt(1)
	scratch_store_b32 v36, v37, off
	scratch_load_b32 v35, v34, off
	v_cndmask_b32_e64 v36, 44, 0x6c, vcc_lo
	v_cndmask_b32_e64 v37, 8, 40, s0
	s_waitcnt lgkmcnt(0)
	scratch_store_b32 v38, v33, off
	scratch_load_b32 v33, v36, off
	s_waitcnt vmcnt(1)
	ds_swizzle_b32 v35, v35 offset:swizzle(SWAP,8)
	s_waitcnt vmcnt(0)
	ds_swizzle_b32 v33, v33 offset:swizzle(SWAP,16)
	s_waitcnt lgkmcnt(1)
	scratch_store_b32 v34, v35, off
	scratch_load_b32 v34, v37, off
	v_cndmask_b32_e64 v35, 48, 0x70, vcc_lo
	scratch_store_b128 off, v[1:4], off offset:112
	s_waitcnt lgkmcnt(0)
	scratch_store_b32 v36, v33, off
	scratch_load_b32 v33, v35, off
	v_cndmask_b32_e64 v36, 12, 44, s0
	s_waitcnt vmcnt(1)
	ds_swizzle_b32 v34, v34 offset:swizzle(SWAP,8)
	s_waitcnt lgkmcnt(0)
	scratch_store_b32 v37, v34, off
	scratch_load_b32 v34, v36, off
	s_waitcnt vmcnt(1)
	ds_swizzle_b32 v33, v33 offset:swizzle(SWAP,16)
	v_cndmask_b32_e64 v37, 52, 0x74, vcc_lo
	s_waitcnt vmcnt(0)
	ds_swizzle_b32 v34, v34 offset:swizzle(SWAP,8)
	s_waitcnt lgkmcnt(1)
	scratch_store_b32 v35, v33, off
	scratch_load_b32 v33, v37, off
	v_cndmask_b32_e64 v35, 16, 48, s0
	s_waitcnt vmcnt(0)
	ds_swizzle_b32 v33, v33 offset:swizzle(SWAP,16)
	s_waitcnt lgkmcnt(1)
	scratch_store_b32 v36, v34, off
	scratch_load_b32 v34, v35, off
	v_cndmask_b32_e64 v36, 56, 0x78, vcc_lo
	s_waitcnt lgkmcnt(0)
	scratch_store_b32 v37, v33, off
	scratch_load_b32 v33, v36, off
	v_and_b32_e32 v37, 4, v65
	s_delay_alu instid0(VALU_DEP_1) | instskip(SKIP_1) | instid1(VALU_DEP_2)
	v_lshlrev_b32_e32 v38, 2, v37
	v_cmp_eq_u32_e32 vcc_lo, 0, v37
	v_xor_b32_e32 v38, 16, v38
	v_cndmask_b32_e64 v37, 4, 20, vcc_lo
	v_cndmask_b32_e32 v59, 0x64, v47, vcc_lo
	s_waitcnt vmcnt(1)
	ds_swizzle_b32 v34, v34 offset:swizzle(SWAP,8)
	s_waitcnt vmcnt(0)
	ds_swizzle_b32 v33, v33 offset:swizzle(SWAP,16)
	s_waitcnt lgkmcnt(1)
	scratch_store_b32 v35, v34, off
	s_clause 0x1
	scratch_load_b32 v34, v39, off
	scratch_load_b32 v35, v38, off
	s_waitcnt vmcnt(1)
	ds_swizzle_b32 v34, v34 offset:swizzle(SWAP,8)
	s_waitcnt vmcnt(0)
	ds_swizzle_b32 v35, v35 offset:swizzle(SWAP,4)
	s_waitcnt lgkmcnt(2)
	scratch_store_b32 v36, v33, off
	scratch_load_b32 v33, v40, off
	v_cndmask_b32_e64 v36, 24, 56, s0
	s_waitcnt lgkmcnt(0)
	scratch_store_b32 v38, v35, off
	v_cndmask_b32_e64 v38, 64, 0x60, s0
	s_waitcnt vmcnt(0)
	ds_swizzle_b32 v33, v33 offset:swizzle(SWAP,16)
	scratch_store_b32 v39, v34, off
	s_clause 0x1
	scratch_load_b32 v34, v36, off
	scratch_load_b32 v35, v37, off
	v_cndmask_b32_e64 v39, 28, 60, s0
	s_waitcnt lgkmcnt(0)
	scratch_store_b32 v40, v33, off
	scratch_load_b32 v33, v38, off
	v_cndmask_b32_e64 v40, 8, 24, vcc_lo
	s_waitcnt vmcnt(2)
	ds_swizzle_b32 v34, v34 offset:swizzle(SWAP,8)
	s_waitcnt vmcnt(1)
	ds_swizzle_b32 v35, v35 offset:swizzle(SWAP,4)
	;; [unrolled: 2-line block ×3, first 2 shown]
	s_waitcnt lgkmcnt(2)
	scratch_store_b32 v36, v34, off
	s_waitcnt lgkmcnt(1)
	scratch_store_b32 v37, v35, off
	s_clause 0x1
	scratch_load_b32 v34, v39, off
	scratch_load_b32 v35, v40, off
	v_mov_b32_e32 v37, 0x64
	s_delay_alu instid0(VALU_DEP_1)
	v_cndmask_b32_e64 v36, 0x44, v37, s0
	s_waitcnt vmcnt(1)
	ds_swizzle_b32 v34, v34 offset:swizzle(SWAP,8)
	s_waitcnt lgkmcnt(1)
	scratch_store_b32 v38, v33, off
	scratch_load_b32 v33, v36, off
	s_waitcnt vmcnt(1)
	ds_swizzle_b32 v35, v35 offset:swizzle(SWAP,4)
	v_cndmask_b32_e64 v38, 12, 28, vcc_lo
	s_waitcnt lgkmcnt(1)
	scratch_store_b32 v39, v34, off
	v_and_b32_e32 v34, 2, v65
	s_waitcnt lgkmcnt(0)
	scratch_store_b32 v40, v35, off
	scratch_load_b32 v35, v38, off
	v_lshlrev_b32_e32 v39, 2, v34
	v_cmp_eq_u32_e64 s1, 0, v34
	s_delay_alu instid0(VALU_DEP_2) | instskip(NEXT) | instid1(VALU_DEP_2)
	v_xor_b32_e32 v39, 8, v39
	v_cndmask_b32_e64 v34, 4, 12, s1
	v_cndmask_b32_e64 v53, 36, 44, s1
	;; [unrolled: 1-line block ×4, first 2 shown]
	v_or_b32_e32 v39, 0, v39
	v_or_b32_e32 v34, 0, v34
	v_cndmask_b32_e64 v41, 0x60, v41, s1
	scratch_load_b32 v40, v39, off
	s_waitcnt vmcnt(2)
	ds_swizzle_b32 v33, v33 offset:swizzle(SWAP,8)
	s_waitcnt lgkmcnt(0)
	scratch_store_b32 v36, v33, off
	scratch_load_b32 v33, v42, off
	v_cndmask_b32_e64 v36, 32, 48, vcc_lo
	s_waitcnt vmcnt(2)
	ds_swizzle_b32 v35, v35 offset:swizzle(SWAP,4)
	scratch_load_b32 v43, v36, off
	s_waitcnt vmcnt(2)
	ds_swizzle_b32 v40, v40 offset:swizzle(SWAP,2)
	s_waitcnt lgkmcnt(1)
	scratch_store_b32 v38, v35, off
	s_waitcnt lgkmcnt(0)
	scratch_store_b32 v39, v40, off
	v_mov_b32_e32 v38, 0x6c
	scratch_load_b32 v35, v34, off
	v_cndmask_b32_e64 v39, 0x4c, v38, s0
	s_waitcnt vmcnt(2)
	ds_swizzle_b32 v33, v33 offset:swizzle(SWAP,8)
	s_waitcnt vmcnt(1)
	ds_swizzle_b32 v40, v43 offset:swizzle(SWAP,4)
	v_and_b32_e32 v43, 1, v65
	s_delay_alu instid0(VALU_DEP_1) | instskip(SKIP_1) | instid1(VALU_DEP_2)
	v_cmp_eq_u32_e64 s2, 0, v43
	v_lshlrev_b32_e32 v45, 2, v43
	v_cndmask_b32_e64 v43, 8, 12, s2
	s_delay_alu instid0(VALU_DEP_2)
	v_xor_b32_e32 v45, 4, v45
	v_cndmask_b32_e64 v50, 16, 20, s2
	s_waitcnt lgkmcnt(1)
	scratch_store_b32 v42, v33, off
	scratch_load_b32 v33, v39, off
	v_cndmask_b32_e64 v42, 36, 52, vcc_lo
	v_or_b32_e32 v43, 0, v43
	v_or_b32_e32 v45, 0, v45
	v_cndmask_b32_e64 v57, 32, 36, s2
	s_waitcnt lgkmcnt(0)
	scratch_store_b32 v36, v40, off
	v_cndmask_b32_e64 v40, 16, 24, s1
	scratch_load_b32 v36, v42, off
	v_cndmask_b32_e64 v62, 48, 52, s2
	v_cndmask_b32_e64 v67, 0x70, v47, s2
	scratch_load_b32 v44, v40, off
	s_waitcnt vmcnt(3)
	ds_swizzle_b32 v35, v35 offset:swizzle(SWAP,2)
	s_waitcnt vmcnt(2)
	ds_swizzle_b32 v33, v33 offset:swizzle(SWAP,8)
	s_waitcnt lgkmcnt(1)
	scratch_store_b32 v34, v35, off
	v_mov_b32_e32 v35, 0x70
	scratch_load_b32 v34, v45, off
	v_cndmask_b32_e64 v46, 0x50, v35, s0
	s_waitcnt vmcnt(2)
	ds_swizzle_b32 v36, v36 offset:swizzle(SWAP,4)
	v_cndmask_b32_e32 v35, 0x60, v35, vcc_lo
	s_waitcnt vmcnt(1)
	ds_swizzle_b32 v44, v44 offset:swizzle(SWAP,2)
	s_waitcnt lgkmcnt(2)
	scratch_store_b32 v39, v33, off
	scratch_load_b32 v33, v46, off
	v_cndmask_b32_e64 v39, 40, 56, vcc_lo
	s_waitcnt lgkmcnt(1)
	scratch_store_b32 v42, v36, off
	v_cndmask_b32_e64 v42, 20, 28, s1
	scratch_load_b32 v36, v39, off
	s_waitcnt lgkmcnt(0)
	scratch_store_b32 v40, v44, off
	scratch_load_b32 v44, v43, off
	s_waitcnt vmcnt(2)
	ds_swizzle_b32 v33, v33 offset:swizzle(SWAP,8)
	s_waitcnt lgkmcnt(0)
	scratch_store_b32 v46, v33, off
	s_clause 0x1
	scratch_load_b32 v33, v48, off
	scratch_load_b32 v40, v42, off
	s_waitcnt vmcnt(3)
	ds_swizzle_b32 v36, v36 offset:swizzle(SWAP,4)
	v_cndmask_b32_e64 v46, 44, 60, vcc_lo
	ds_swizzle_b32 v34, v34 offset:swizzle(SWAP,1)
	s_waitcnt vmcnt(1)
	ds_swizzle_b32 v33, v33 offset:swizzle(SWAP,8)
	s_waitcnt vmcnt(0)
	ds_swizzle_b32 v40, v40 offset:swizzle(SWAP,2)
	s_waitcnt lgkmcnt(3)
	scratch_store_b32 v39, v36, off
	v_cndmask_b32_e64 v39, 32, 40, s1
	s_clause 0x1
	scratch_load_b32 v36, v46, off
	scratch_load_b32 v49, v39, off
	ds_swizzle_b32 v44, v44 offset:swizzle(SWAP,1)
	s_waitcnt lgkmcnt(2)
	scratch_store_b32 v48, v33, off
	s_waitcnt lgkmcnt(1)
	scratch_store_b32 v42, v40, off
	v_mov_b32_e32 v42, 0x78
	scratch_load_b32 v40, v50, off
	v_cndmask_b32_e64 v48, 64, 0x50, vcc_lo
	v_cndmask_b32_e64 v51, 0x58, v42, s0
	s_clause 0x1
	scratch_load_b32 v33, v51, off
	scratch_load_b32 v52, v48, off
	s_waitcnt vmcnt(4)
	ds_swizzle_b32 v36, v36 offset:swizzle(SWAP,4)
	s_waitcnt vmcnt(3)
	ds_swizzle_b32 v49, v49 offset:swizzle(SWAP,2)
	s_waitcnt lgkmcnt(1)
	scratch_store_b32 v46, v36, off
	s_waitcnt lgkmcnt(0)
	scratch_store_b32 v39, v49, off
	v_mov_b32_e32 v49, 0x7c
	scratch_load_b32 v36, v53, off
	v_cndmask_b32_e64 v39, 24, 28, s2
	s_waitcnt vmcnt(3)
	ds_swizzle_b32 v40, v40 offset:swizzle(SWAP,1)
	s_waitcnt vmcnt(2)
	ds_swizzle_b32 v33, v33 offset:swizzle(SWAP,8)
	v_cndmask_b32_e64 v54, 0x5c, v49, s0
	s_waitcnt vmcnt(1)
	ds_swizzle_b32 v52, v52 offset:swizzle(SWAP,4)
	s_waitcnt lgkmcnt(1)
	scratch_store_b32 v51, v33, off
	scratch_load_b32 v33, v54, off
	s_waitcnt lgkmcnt(0)
	scratch_store_b32 v48, v52, off
	v_mov_b32_e32 v51, 0x54
	v_cndmask_b32_e64 v48, 48, 56, s1
	scratch_load_b32 v46, v39, off
	v_cndmask_b32_e32 v55, 0x44, v51, vcc_lo
	s_clause 0x1
	scratch_load_b32 v52, v55, off
	scratch_load_b32 v56, v48, off
	s_waitcnt vmcnt(4)
	ds_swizzle_b32 v36, v36 offset:swizzle(SWAP,2)
	s_waitcnt vmcnt(3)
	ds_swizzle_b32 v33, v33 offset:swizzle(SWAP,8)
	;; [unrolled: 2-line block ×4, first 2 shown]
	s_waitcnt lgkmcnt(3)
	scratch_store_b32 v53, v36, off
	s_waitcnt vmcnt(0)
	ds_swizzle_b32 v53, v56 offset:swizzle(SWAP,2)
	scratch_load_b32 v36, v57, off
	s_waitcnt lgkmcnt(3)
	scratch_store_b32 v54, v33, off
	scratch_load_b32 v33, v35, off
	v_mov_b32_e32 v54, 0x58
	s_delay_alu instid0(VALU_DEP_1)
	v_cndmask_b32_e32 v56, 0x48, v54, vcc_lo
	s_waitcnt lgkmcnt(1)
	scratch_store_b32 v55, v52, off
	scratch_load_b32 v52, v56, off
	s_waitcnt lgkmcnt(0)
	scratch_store_b32 v48, v53, off
	v_cndmask_b32_e64 v53, 40, 44, s2
	scratch_load_b32 v48, v53, off
	s_waitcnt vmcnt(3)
	ds_swizzle_b32 v55, v36 offset:swizzle(SWAP,1)
	scratch_load_b32 v36, v58, off
	s_waitcnt vmcnt(3)
	ds_swizzle_b32 v33, v33 offset:swizzle(SWAP,4)
	s_waitcnt vmcnt(2)
	ds_swizzle_b32 v52, v52 offset:swizzle(SWAP,4)
	;; [unrolled: 2-line block ×3, first 2 shown]
	v_cndmask_b32_e32 v48, 0x68, v42, vcc_lo
	s_waitcnt lgkmcnt(2)
	scratch_store_b32 v35, v33, off
	scratch_load_b32 v33, v59, off
	v_cndmask_b32_e32 v35, 0x4c, v60, vcc_lo
	v_cndmask_b32_e64 v42, 0x70, v42, s1
	s_waitcnt lgkmcnt(1)
	scratch_store_b32 v56, v52, off
	s_clause 0x1
	scratch_load_b32 v52, v35, off
	scratch_load_b32 v56, v61, off
	s_waitcnt vmcnt(3)
	ds_swizzle_b32 v36, v36 offset:swizzle(SWAP,2)
	s_waitcnt vmcnt(2)
	ds_swizzle_b32 v33, v33 offset:swizzle(SWAP,4)
	;; [unrolled: 2-line block ×3, first 2 shown]
	s_waitcnt lgkmcnt(2)
	scratch_store_b32 v58, v36, off
	s_waitcnt vmcnt(0)
	ds_swizzle_b32 v56, v56 offset:swizzle(SWAP,2)
	scratch_load_b32 v36, v62, off
	s_waitcnt lgkmcnt(2)
	scratch_store_b32 v59, v33, off
	scratch_load_b32 v58, v48, off
	v_mov_b32_e32 v59, 0x4c
	s_delay_alu instid0(VALU_DEP_1)
	v_cndmask_b32_e64 v64, 0x44, v59, s1
	v_cndmask_b32_e64 v59, 0x48, v59, s2
	s_waitcnt lgkmcnt(1)
	scratch_store_b32 v35, v52, off
	s_waitcnt lgkmcnt(0)
	scratch_store_b32 v61, v56, off
	scratch_load_b32 v56, v64, off
	v_cndmask_b32_e64 v61, 56, 60, s2
	scratch_load_b32 v66, v61, off
	s_clause 0x1
	scratch_store_b32 v45, v34, off
	scratch_store_b32 v43, v44, off
	v_cndmask_b32_e32 v44, 0x6c, v49, vcc_lo
	s_waitcnt vmcnt(3)
	ds_swizzle_b32 v52, v36 offset:swizzle(SWAP,1)
	scratch_load_b128 v[33:36], off, off
	s_waitcnt vmcnt(3)
	ds_swizzle_b32 v43, v58 offset:swizzle(SWAP,4)
	v_cndmask_b32_e64 v58, 64, 0x44, s2
	s_waitcnt vmcnt(2)
	ds_swizzle_b32 v45, v56 offset:swizzle(SWAP,2)
	s_waitcnt vmcnt(1)
	ds_swizzle_b32 v66, v66 offset:swizzle(SWAP,1)
	s_waitcnt lgkmcnt(2)
	scratch_store_b32 v48, v43, off
	scratch_load_b32 v43, v44, off
	v_cndmask_b32_e64 v48, 0x50, v54, s1
	s_clause 0x1
	scratch_load_b32 v56, v41, off
	scratch_load_b32 v54, v48, off
	s_waitcnt lgkmcnt(1)
	scratch_store_b32 v64, v45, off
	scratch_load_b32 v45, v58, off
	v_cndmask_b32_e64 v64, 0x64, v38, s1
	s_waitcnt vmcnt(3)
	ds_swizzle_b32 v43, v43 offset:swizzle(SWAP,4)
	s_waitcnt vmcnt(0)
	ds_swizzle_b32 v45, v45 offset:swizzle(SWAP,1)
	s_waitcnt lgkmcnt(1)
	scratch_store_b32 v44, v43, off
	scratch_load_b32 v43, v42, off
	ds_swizzle_b32 v54, v54 offset:swizzle(SWAP,2)
	v_cndmask_b32_e64 v44, 0x54, v60, s1
	ds_swizzle_b32 v56, v56 offset:swizzle(SWAP,2)
	s_waitcnt lgkmcnt(1)
	scratch_store_b32 v48, v54, off
	s_clause 0x1
	scratch_load_b32 v48, v44, off
	scratch_load_b32 v54, v59, off
	s_waitcnt vmcnt(2)
	ds_swizzle_b32 v43, v43 offset:swizzle(SWAP,2)
	s_waitcnt lgkmcnt(1)
	scratch_store_b32 v41, v56, off
	v_cndmask_b32_e64 v56, 0x74, v49, s1
	scratch_load_b32 v41, v64, off
	v_cndmask_b32_e64 v49, 0x78, v49, s2
	s_waitcnt vmcnt(2)
	ds_swizzle_b32 v48, v48 offset:swizzle(SWAP,2)
	s_waitcnt lgkmcnt(1)
	scratch_store_b32 v42, v43, off
	scratch_load_b32 v42, v56, off
	v_cndmask_b32_e64 v43, 0x50, v51, s2
	v_cndmask_b32_e64 v51, 0x60, v37, s2
	s_waitcnt vmcnt(2)
	ds_swizzle_b32 v54, v54 offset:swizzle(SWAP,1)
	s_waitcnt vmcnt(1)
	ds_swizzle_b32 v41, v41 offset:swizzle(SWAP,2)
	s_waitcnt lgkmcnt(2)
	scratch_store_b32 v44, v48, off
	scratch_load_b32 v44, v43, off
	v_cndmask_b32_e64 v48, 0x58, v60, s2
	v_cndmask_b32_e64 v60, 0x68, v38, s2
	s_waitcnt lgkmcnt(0)
	scratch_store_b32 v64, v41, off
	s_waitcnt vmcnt(1)
	ds_swizzle_b32 v42, v42 offset:swizzle(SWAP,2)
	s_clause 0x2
	scratch_load_b32 v37, v48, off
	scratch_load_b32 v38, v51, off
	;; [unrolled: 1-line block ×3, first 2 shown]
	s_waitcnt lgkmcnt(0)
	scratch_store_b32 v56, v42, off
	s_clause 0x1
	scratch_load_b32 v42, v67, off
	scratch_load_b32 v47, v49, off
	s_clause 0x1
	scratch_store_b32 v50, v40, off
	scratch_store_b32 v39, v46, off
	s_waitcnt vmcnt(5)
	ds_swizzle_b32 v44, v44 offset:swizzle(SWAP,1)
	s_waitcnt vmcnt(4)
	ds_swizzle_b32 v56, v37 offset:swizzle(SWAP,1)
	;; [unrolled: 2-line block ×4, first 2 shown]
	scratch_load_b128 v[37:40], off, off offset:16
	s_clause 0x2
	scratch_store_b32 v61, v66, off
	scratch_store_b32 v58, v45, off
	;; [unrolled: 1-line block ×3, first 2 shown]
	s_waitcnt lgkmcnt(3)
	scratch_store_b32 v43, v44, off
	s_waitcnt lgkmcnt(2)
	scratch_store_b32 v48, v56, off
	s_waitcnt lgkmcnt(1)
	s_clause 0x1
	scratch_store_b32 v51, v64, off
	scratch_store_b32 v57, v55, off
	s_waitcnt lgkmcnt(0)
	scratch_store_b32 v60, v41, off
	s_waitcnt vmcnt(2)
	ds_swizzle_b32 v50, v42 offset:swizzle(SWAP,1)
	s_waitcnt vmcnt(1)
	ds_swizzle_b32 v68, v47 offset:swizzle(SWAP,1)
	s_clause 0x1
	scratch_load_b128 v[41:44], off, off offset:64
	scratch_load_b128 v[45:48], off, off offset:80
	s_clause 0x1
	scratch_store_b32 v53, v63, off
	scratch_store_b32 v62, v52, off
	s_clause 0x1
	scratch_load_b128 v[61:64], off, off offset:32
	scratch_load_b128 v[57:60], off, off offset:48
	s_waitcnt lgkmcnt(1)
	scratch_store_b32 v67, v50, off
	s_waitcnt lgkmcnt(0)
	scratch_store_b32 v49, v68, off
	s_clause 0x1
	scratch_load_b128 v[53:56], off, off offset:96
	scratch_load_b128 v[49:52], off, off offset:112
	s_and_not1_b32 vcc_lo, exec_lo, s3
	s_cbranch_vccz .LBB36_3
	s_branch .LBB36_4
.LBB36_2:
                                        ; implicit-def: $vgpr52
                                        ; implicit-def: $vgpr56
                                        ; implicit-def: $vgpr48
                                        ; implicit-def: $vgpr44
                                        ; implicit-def: $vgpr60
                                        ; implicit-def: $vgpr64
                                        ; implicit-def: $vgpr40
                                        ; implicit-def: $vgpr36
.LBB36_3:
	v_and_b32_e32 v33, 16, v65
	s_waitcnt vmcnt(7)
	scratch_store_b128 off, v[29:32], off
	s_waitcnt vmcnt(6)
	scratch_store_b128 off, v[25:28], off offset:16
	s_waitcnt vmcnt(5)
	scratch_store_b128 off, v[21:24], off offset:32
	;; [unrolled: 2-line block ×4, first 2 shown]
	v_lshlrev_b32_e32 v34, 2, v33
	v_cmp_eq_u32_e32 vcc_lo, 0, v33
	s_delay_alu instid0(VALU_DEP_2)
	v_xor_b32_e32 v34, 64, v34
	v_cndmask_b32_e64 v14, 4, 0x44, vcc_lo
	v_cndmask_b32_e64 v15, 8, 0x48, vcc_lo
	scratch_load_b32 v13, v34, off
	s_waitcnt vmcnt(0)
	ds_swizzle_b32 v13, v13 offset:swizzle(SWAP,16)
	s_waitcnt lgkmcnt(0)
	scratch_store_b32 v34, v13, off
	scratch_load_b32 v13, v14, off
	s_waitcnt vmcnt(0)
	ds_swizzle_b32 v13, v13 offset:swizzle(SWAP,16)
	s_waitcnt lgkmcnt(0)
	scratch_store_b32 v14, v13, off
	scratch_load_b32 v13, v15, off
	v_cndmask_b32_e64 v14, 12, 0x4c, vcc_lo
	s_waitcnt vmcnt(0)
	ds_swizzle_b32 v13, v13 offset:swizzle(SWAP,16)
	s_waitcnt lgkmcnt(0)
	scratch_store_b32 v15, v13, off
	scratch_load_b32 v13, v14, off
	v_cndmask_b32_e64 v15, 16, 0x50, vcc_lo
	s_waitcnt vmcnt(0)
	ds_swizzle_b32 v13, v13 offset:swizzle(SWAP,16)
	scratch_store_b128 off, v[9:12], off offset:80
	s_waitcnt lgkmcnt(0)
	scratch_store_b32 v14, v13, off
	scratch_load_b32 v9, v15, off
	v_cndmask_b32_e64 v10, 20, 0x54, vcc_lo
	v_cndmask_b32_e64 v11, 24, 0x58, vcc_lo
	s_waitcnt vmcnt(0)
	ds_swizzle_b32 v9, v9 offset:swizzle(SWAP,16)
	s_waitcnt lgkmcnt(0)
	scratch_store_b32 v15, v9, off
	scratch_load_b32 v9, v10, off
	v_mov_b32_e32 v15, 0x74
	s_waitcnt vmcnt(0)
	ds_swizzle_b32 v9, v9 offset:swizzle(SWAP,16)
	s_waitcnt lgkmcnt(0)
	scratch_store_b32 v10, v9, off
	scratch_load_b32 v9, v11, off
	v_cndmask_b32_e64 v10, 28, 0x5c, vcc_lo
	s_waitcnt vmcnt(0)
	ds_swizzle_b32 v9, v9 offset:swizzle(SWAP,16)
	s_waitcnt lgkmcnt(0)
	scratch_store_b32 v11, v9, off
	scratch_load_b32 v9, v10, off
	v_cndmask_b32_e64 v11, 32, 0x60, vcc_lo
	s_waitcnt vmcnt(0)
	ds_swizzle_b32 v9, v9 offset:swizzle(SWAP,16)
	scratch_store_b128 off, v[5:8], off offset:96
	s_waitcnt lgkmcnt(0)
	scratch_store_b32 v10, v9, off
	scratch_load_b32 v5, v11, off
	v_cndmask_b32_e64 v6, 36, 0x64, vcc_lo
	v_and_b32_e32 v7, 8, v65
	v_cndmask_b32_e64 v10, 40, 0x68, vcc_lo
	s_delay_alu instid0(VALU_DEP_2) | instskip(SKIP_1) | instid1(VALU_DEP_2)
	v_lshlrev_b32_e32 v8, 2, v7
	v_cmp_eq_u32_e64 s0, 0, v7
	v_xor_b32_e32 v8, 32, v8
	s_delay_alu instid0(VALU_DEP_2)
	v_cndmask_b32_e64 v16, 0x54, v15, s0
	s_waitcnt vmcnt(0)
	ds_swizzle_b32 v5, v5 offset:swizzle(SWAP,16)
	s_waitcnt lgkmcnt(0)
	scratch_store_b32 v11, v5, off
	s_clause 0x1
	scratch_load_b32 v5, v6, off
	scratch_load_b32 v9, v8, off
	s_waitcnt vmcnt(1)
	ds_swizzle_b32 v5, v5 offset:swizzle(SWAP,16)
	s_waitcnt vmcnt(0)
	ds_swizzle_b32 v9, v9 offset:swizzle(SWAP,8)
	s_waitcnt lgkmcnt(1)
	scratch_store_b32 v6, v5, off
	scratch_load_b32 v5, v10, off
	v_cndmask_b32_e64 v6, 4, 36, s0
	s_waitcnt vmcnt(0)
	ds_swizzle_b32 v5, v5 offset:swizzle(SWAP,16)
	s_waitcnt lgkmcnt(1)
	scratch_store_b32 v8, v9, off
	scratch_load_b32 v7, v6, off
	v_cndmask_b32_e64 v8, 44, 0x6c, vcc_lo
	v_cndmask_b32_e64 v9, 8, 40, s0
	s_waitcnt lgkmcnt(0)
	scratch_store_b32 v10, v5, off
	scratch_load_b32 v5, v8, off
	s_waitcnt vmcnt(1)
	ds_swizzle_b32 v7, v7 offset:swizzle(SWAP,8)
	s_waitcnt vmcnt(0)
	ds_swizzle_b32 v5, v5 offset:swizzle(SWAP,16)
	s_waitcnt lgkmcnt(1)
	scratch_store_b32 v6, v7, off
	scratch_load_b32 v6, v9, off
	v_cndmask_b32_e64 v7, 48, 0x70, vcc_lo
	scratch_store_b128 off, v[1:4], off offset:112
	s_waitcnt lgkmcnt(0)
	scratch_store_b32 v8, v5, off
	scratch_load_b32 v1, v7, off
	v_cndmask_b32_e64 v2, 12, 44, s0
	v_cndmask_b32_e64 v4, 52, 0x74, vcc_lo
	v_cndmask_b32_e64 v5, 16, 48, s0
	v_cndmask_b32_e64 v8, 60, 0x7c, vcc_lo
	s_waitcnt vmcnt(1)
	ds_swizzle_b32 v6, v6 offset:swizzle(SWAP,8)
	s_waitcnt vmcnt(0)
	ds_swizzle_b32 v1, v1 offset:swizzle(SWAP,16)
	s_waitcnt lgkmcnt(1)
	scratch_store_b32 v9, v6, off
	scratch_load_b32 v3, v2, off
	v_mov_b32_e32 v9, 0x68
	s_delay_alu instid0(VALU_DEP_1)
	v_cndmask_b32_e64 v10, 0x48, v9, s0
	s_waitcnt lgkmcnt(0)
	scratch_store_b32 v7, v1, off
	scratch_load_b32 v1, v4, off
	v_cndmask_b32_e64 v7, 20, 52, s0
	s_waitcnt vmcnt(1)
	ds_swizzle_b32 v3, v3 offset:swizzle(SWAP,8)
	s_waitcnt vmcnt(0)
	ds_swizzle_b32 v1, v1 offset:swizzle(SWAP,16)
	s_waitcnt lgkmcnt(1)
	scratch_store_b32 v2, v3, off
	scratch_load_b32 v2, v5, off
	v_cndmask_b32_e64 v3, 56, 0x78, vcc_lo
	s_waitcnt lgkmcnt(0)
	scratch_store_b32 v4, v1, off
	scratch_load_b32 v1, v3, off
	v_and_b32_e32 v4, 4, v65
	s_delay_alu instid0(VALU_DEP_1) | instskip(SKIP_1) | instid1(VALU_DEP_2)
	v_lshlrev_b32_e32 v6, 2, v4
	v_cmp_eq_u32_e32 vcc_lo, 0, v4
	v_xor_b32_e32 v6, 16, v6
	v_cndmask_b32_e64 v4, 4, 20, vcc_lo
	v_cndmask_b32_e32 v27, 0x64, v15, vcc_lo
	s_waitcnt vmcnt(1)
	ds_swizzle_b32 v2, v2 offset:swizzle(SWAP,8)
	s_waitcnt vmcnt(0)
	ds_swizzle_b32 v1, v1 offset:swizzle(SWAP,16)
	s_waitcnt lgkmcnt(1)
	scratch_store_b32 v5, v2, off
	s_clause 0x1
	scratch_load_b32 v2, v7, off
	scratch_load_b32 v5, v6, off
	s_waitcnt vmcnt(1)
	ds_swizzle_b32 v2, v2 offset:swizzle(SWAP,8)
	s_waitcnt vmcnt(0)
	ds_swizzle_b32 v5, v5 offset:swizzle(SWAP,4)
	s_waitcnt lgkmcnt(2)
	scratch_store_b32 v3, v1, off
	scratch_load_b32 v1, v8, off
	v_cndmask_b32_e64 v3, 24, 56, s0
	s_waitcnt lgkmcnt(0)
	scratch_store_b32 v6, v5, off
	v_cndmask_b32_e64 v6, 64, 0x60, s0
	s_waitcnt vmcnt(0)
	ds_swizzle_b32 v1, v1 offset:swizzle(SWAP,16)
	scratch_store_b32 v7, v2, off
	s_clause 0x1
	scratch_load_b32 v2, v3, off
	scratch_load_b32 v5, v4, off
	v_cndmask_b32_e64 v7, 28, 60, s0
	s_waitcnt lgkmcnt(0)
	scratch_store_b32 v8, v1, off
	scratch_load_b32 v1, v6, off
	v_cndmask_b32_e64 v8, 8, 24, vcc_lo
	s_waitcnt vmcnt(2)
	ds_swizzle_b32 v2, v2 offset:swizzle(SWAP,8)
	s_waitcnt vmcnt(1)
	ds_swizzle_b32 v5, v5 offset:swizzle(SWAP,4)
	;; [unrolled: 2-line block ×3, first 2 shown]
	s_waitcnt lgkmcnt(2)
	scratch_store_b32 v3, v2, off
	s_waitcnt lgkmcnt(1)
	scratch_store_b32 v4, v5, off
	s_clause 0x1
	scratch_load_b32 v2, v7, off
	scratch_load_b32 v3, v8, off
	v_mov_b32_e32 v4, 0x64
	s_delay_alu instid0(VALU_DEP_1)
	v_cndmask_b32_e64 v5, 0x44, v4, s0
	s_waitcnt vmcnt(1)
	ds_swizzle_b32 v2, v2 offset:swizzle(SWAP,8)
	s_waitcnt lgkmcnt(1)
	scratch_store_b32 v6, v1, off
	scratch_load_b32 v1, v5, off
	s_waitcnt vmcnt(1)
	ds_swizzle_b32 v3, v3 offset:swizzle(SWAP,4)
	v_cndmask_b32_e64 v6, 12, 28, vcc_lo
	s_waitcnt lgkmcnt(1)
	scratch_store_b32 v7, v2, off
	v_and_b32_e32 v2, 2, v65
	s_waitcnt lgkmcnt(0)
	scratch_store_b32 v8, v3, off
	scratch_load_b32 v3, v6, off
	v_lshlrev_b32_e32 v7, 2, v2
	v_cmp_eq_u32_e64 s1, 0, v2
	s_delay_alu instid0(VALU_DEP_2) | instskip(NEXT) | instid1(VALU_DEP_2)
	v_xor_b32_e32 v7, 8, v7
	v_cndmask_b32_e64 v2, 4, 12, s1
	v_cndmask_b32_e64 v21, 36, 44, s1
	;; [unrolled: 1-line block ×4, first 2 shown]
	v_or_b32_e32 v7, 0, v7
	v_or_b32_e32 v2, 0, v2
	v_cndmask_b32_e64 v9, 0x60, v9, s1
	scratch_load_b32 v8, v7, off
	s_waitcnt vmcnt(2)
	ds_swizzle_b32 v1, v1 offset:swizzle(SWAP,8)
	s_waitcnt lgkmcnt(0)
	scratch_store_b32 v5, v1, off
	scratch_load_b32 v1, v10, off
	v_cndmask_b32_e64 v5, 32, 48, vcc_lo
	s_waitcnt vmcnt(2)
	ds_swizzle_b32 v3, v3 offset:swizzle(SWAP,4)
	scratch_load_b32 v11, v5, off
	s_waitcnt vmcnt(2)
	ds_swizzle_b32 v8, v8 offset:swizzle(SWAP,2)
	s_waitcnt lgkmcnt(1)
	scratch_store_b32 v6, v3, off
	s_waitcnt lgkmcnt(0)
	scratch_store_b32 v7, v8, off
	v_mov_b32_e32 v6, 0x6c
	scratch_load_b32 v3, v2, off
	v_cndmask_b32_e64 v7, 0x4c, v6, s0
	s_waitcnt vmcnt(2)
	ds_swizzle_b32 v1, v1 offset:swizzle(SWAP,8)
	s_waitcnt vmcnt(1)
	ds_swizzle_b32 v8, v11 offset:swizzle(SWAP,4)
	v_and_b32_e32 v11, 1, v65
	s_delay_alu instid0(VALU_DEP_1) | instskip(SKIP_1) | instid1(VALU_DEP_2)
	v_cmp_eq_u32_e64 s2, 0, v11
	v_lshlrev_b32_e32 v13, 2, v11
	v_cndmask_b32_e64 v11, 8, 12, s2
	s_delay_alu instid0(VALU_DEP_2)
	v_xor_b32_e32 v13, 4, v13
	v_cndmask_b32_e64 v18, 16, 20, s2
	s_waitcnt lgkmcnt(1)
	scratch_store_b32 v10, v1, off
	scratch_load_b32 v1, v7, off
	v_cndmask_b32_e64 v10, 36, 52, vcc_lo
	v_or_b32_e32 v11, 0, v11
	v_or_b32_e32 v13, 0, v13
	v_cndmask_b32_e64 v25, 32, 36, s2
	s_waitcnt lgkmcnt(0)
	scratch_store_b32 v5, v8, off
	v_cndmask_b32_e64 v8, 16, 24, s1
	scratch_load_b32 v5, v10, off
	v_cndmask_b32_e64 v30, 48, 52, s2
	v_cndmask_b32_e64 v4, 0x60, v4, s2
	;; [unrolled: 1-line block ×3, first 2 shown]
	scratch_load_b32 v12, v8, off
	s_waitcnt vmcnt(3)
	ds_swizzle_b32 v3, v3 offset:swizzle(SWAP,2)
	s_waitcnt vmcnt(2)
	ds_swizzle_b32 v1, v1 offset:swizzle(SWAP,8)
	s_waitcnt lgkmcnt(1)
	scratch_store_b32 v2, v3, off
	v_mov_b32_e32 v3, 0x70
	scratch_load_b32 v2, v13, off
	v_cndmask_b32_e64 v14, 0x50, v3, s0
	s_waitcnt vmcnt(2)
	ds_swizzle_b32 v5, v5 offset:swizzle(SWAP,4)
	v_cndmask_b32_e32 v3, 0x60, v3, vcc_lo
	s_waitcnt vmcnt(1)
	ds_swizzle_b32 v12, v12 offset:swizzle(SWAP,2)
	s_waitcnt lgkmcnt(2)
	scratch_store_b32 v7, v1, off
	scratch_load_b32 v1, v14, off
	v_cndmask_b32_e64 v7, 40, 56, vcc_lo
	s_waitcnt lgkmcnt(1)
	scratch_store_b32 v10, v5, off
	scratch_load_b32 v5, v7, off
	v_cndmask_b32_e64 v10, 20, 28, s1
	s_waitcnt lgkmcnt(0)
	scratch_store_b32 v8, v12, off
	scratch_load_b32 v12, v11, off
	s_waitcnt vmcnt(2)
	ds_swizzle_b32 v1, v1 offset:swizzle(SWAP,8)
	s_waitcnt lgkmcnt(0)
	scratch_store_b32 v14, v1, off
	s_clause 0x1
	scratch_load_b32 v1, v16, off
	scratch_load_b32 v8, v10, off
	s_waitcnt vmcnt(3)
	ds_swizzle_b32 v5, v5 offset:swizzle(SWAP,4)
	v_cndmask_b32_e64 v14, 44, 60, vcc_lo
	ds_swizzle_b32 v2, v2 offset:swizzle(SWAP,1)
	s_waitcnt vmcnt(1)
	ds_swizzle_b32 v1, v1 offset:swizzle(SWAP,8)
	s_waitcnt vmcnt(0)
	ds_swizzle_b32 v8, v8 offset:swizzle(SWAP,2)
	s_waitcnt lgkmcnt(3)
	scratch_store_b32 v7, v5, off
	v_cndmask_b32_e64 v7, 32, 40, s1
	s_clause 0x1
	scratch_load_b32 v5, v14, off
	scratch_load_b32 v17, v7, off
	ds_swizzle_b32 v12, v12 offset:swizzle(SWAP,1)
	s_waitcnt lgkmcnt(2)
	scratch_store_b32 v16, v1, off
	s_waitcnt lgkmcnt(1)
	scratch_store_b32 v10, v8, off
	v_mov_b32_e32 v10, 0x78
	scratch_load_b32 v8, v18, off
	v_cndmask_b32_e64 v16, 64, 0x50, vcc_lo
	v_cndmask_b32_e64 v19, 0x58, v10, s0
	s_clause 0x1
	scratch_load_b32 v1, v19, off
	scratch_load_b32 v20, v16, off
	s_waitcnt vmcnt(4)
	ds_swizzle_b32 v5, v5 offset:swizzle(SWAP,4)
	s_waitcnt vmcnt(3)
	ds_swizzle_b32 v17, v17 offset:swizzle(SWAP,2)
	s_waitcnt lgkmcnt(1)
	scratch_store_b32 v14, v5, off
	s_waitcnt lgkmcnt(0)
	scratch_store_b32 v7, v17, off
	scratch_load_b32 v5, v21, off
	v_mov_b32_e32 v17, 0x7c
	v_cndmask_b32_e64 v7, 24, 28, s2
	s_waitcnt vmcnt(3)
	ds_swizzle_b32 v8, v8 offset:swizzle(SWAP,1)
	s_waitcnt vmcnt(2)
	ds_swizzle_b32 v1, v1 offset:swizzle(SWAP,8)
	;; [unrolled: 2-line block ×3, first 2 shown]
	v_cndmask_b32_e64 v22, 0x5c, v17, s0
	s_waitcnt lgkmcnt(1)
	scratch_store_b32 v19, v1, off
	s_waitcnt lgkmcnt(0)
	scratch_store_b32 v16, v20, off
	v_mov_b32_e32 v19, 0x54
	scratch_load_b32 v1, v22, off
	v_cndmask_b32_e64 v16, 48, 56, s1
	scratch_load_b32 v14, v7, off
	v_cndmask_b32_e32 v23, 0x44, v19, vcc_lo
	s_clause 0x1
	scratch_load_b32 v20, v23, off
	scratch_load_b32 v24, v16, off
	s_waitcnt vmcnt(4)
	ds_swizzle_b32 v5, v5 offset:swizzle(SWAP,2)
	s_waitcnt vmcnt(3)
	ds_swizzle_b32 v1, v1 offset:swizzle(SWAP,8)
	;; [unrolled: 2-line block ×4, first 2 shown]
	s_waitcnt lgkmcnt(3)
	scratch_store_b32 v21, v5, off
	s_waitcnt vmcnt(0)
	ds_swizzle_b32 v21, v24 offset:swizzle(SWAP,2)
	scratch_load_b32 v5, v25, off
	s_waitcnt lgkmcnt(3)
	scratch_store_b32 v22, v1, off
	v_mov_b32_e32 v22, 0x58
	scratch_load_b32 v1, v3, off
	v_cndmask_b32_e32 v24, 0x48, v22, vcc_lo
	s_waitcnt lgkmcnt(1)
	scratch_store_b32 v23, v20, off
	s_waitcnt lgkmcnt(0)
	scratch_store_b32 v16, v21, off
	s_clause 0x1
	scratch_load_b32 v16, v26, off
	scratch_load_b32 v20, v24, off
	v_cndmask_b32_e64 v21, 40, 44, s2
	scratch_load_b32 v23, v21, off
	s_waitcnt vmcnt(4)
	ds_swizzle_b32 v5, v5 offset:swizzle(SWAP,1)
	s_waitcnt vmcnt(3)
	ds_swizzle_b32 v1, v1 offset:swizzle(SWAP,4)
	s_waitcnt vmcnt(2)
	ds_swizzle_b32 v16, v16 offset:swizzle(SWAP,2)
	s_waitcnt vmcnt(1)
	ds_swizzle_b32 v20, v20 offset:swizzle(SWAP,4)
	s_waitcnt vmcnt(0)
	ds_swizzle_b32 v23, v23 offset:swizzle(SWAP,1)
	s_waitcnt lgkmcnt(3)
	scratch_store_b32 v3, v1, off
	v_mov_b32_e32 v3, 0x5c
	scratch_load_b32 v1, v27, off
	v_cndmask_b32_e32 v28, 0x4c, v3, vcc_lo
	s_waitcnt lgkmcnt(1)
	scratch_store_b32 v24, v20, off
	s_clause 0x1
	scratch_load_b32 v20, v28, off
	scratch_load_b32 v24, v29, off
	s_waitcnt vmcnt(2)
	ds_swizzle_b32 v1, v1 offset:swizzle(SWAP,4)
	scratch_store_b32 v26, v16, off
	v_cndmask_b32_e32 v26, 0x68, v10, vcc_lo
	scratch_load_b32 v16, v30, off
	v_cndmask_b32_e64 v10, 0x70, v10, s1
	s_waitcnt vmcnt(2)
	ds_swizzle_b32 v20, v20 offset:swizzle(SWAP,4)
	s_waitcnt vmcnt(1)
	ds_swizzle_b32 v24, v24 offset:swizzle(SWAP,2)
	s_waitcnt lgkmcnt(2)
	scratch_store_b32 v27, v1, off
	v_mov_b32_e32 v27, 0x4c
	s_delay_alu instid0(VALU_DEP_1)
	v_cndmask_b32_e64 v31, 0x44, v27, s1
	v_cndmask_b32_e64 v27, 0x48, v27, s2
	s_waitcnt lgkmcnt(1)
	scratch_store_b32 v28, v20, off
	s_waitcnt lgkmcnt(0)
	scratch_store_b32 v29, v24, off
	v_cndmask_b32_e64 v24, 56, 60, s2
	s_clause 0x2
	scratch_load_b32 v20, v31, off
	scratch_load_b32 v1, v26, off
	;; [unrolled: 1-line block ×3, first 2 shown]
	s_clause 0x1
	scratch_store_b32 v13, v2, off
	scratch_store_b32 v11, v12, off
	v_cndmask_b32_e32 v2, 0x6c, v17, vcc_lo
	v_cndmask_b32_e64 v12, 0x50, v22, s1
	v_cndmask_b32_e64 v22, 64, 0x44, s2
	scratch_load_b128 v[33:36], off, off
	scratch_load_b32 v13, v12, off
	s_waitcnt vmcnt(5)
	ds_swizzle_b32 v16, v16 offset:swizzle(SWAP,1)
	s_waitcnt vmcnt(4)
	ds_swizzle_b32 v11, v20 offset:swizzle(SWAP,2)
	;; [unrolled: 2-line block ×3, first 2 shown]
	s_waitcnt lgkmcnt(0)
	scratch_store_b32 v26, v1, off
	s_clause 0x1
	scratch_load_b32 v20, v9, off
	scratch_load_b32 v1, v2, off
	s_waitcnt vmcnt(2)
	ds_swizzle_b32 v13, v13 offset:swizzle(SWAP,2)
	ds_swizzle_b32 v26, v28 offset:swizzle(SWAP,1)
	v_cndmask_b32_e64 v28, 0x64, v6, s1
	v_cndmask_b32_e64 v6, 0x68, v6, s2
	s_waitcnt lgkmcnt(1)
	scratch_store_b32 v12, v13, off
	s_waitcnt vmcnt(1)
	ds_swizzle_b32 v20, v20 offset:swizzle(SWAP,2)
	s_waitcnt vmcnt(0)
	ds_swizzle_b32 v1, v1 offset:swizzle(SWAP,4)
	s_waitcnt lgkmcnt(0)
	s_clause 0x1
	scratch_store_b32 v2, v1, off
	scratch_store_b32 v31, v11, off
	s_clause 0x1
	scratch_load_b32 v11, v22, off
	scratch_load_b32 v1, v10, off
	v_cndmask_b32_e64 v2, 0x54, v3, s1
	s_clause 0x1
	scratch_load_b32 v12, v2, off
	scratch_load_b32 v13, v27, off
	v_cndmask_b32_e64 v3, 0x58, v3, s2
	s_waitcnt vmcnt(3)
	ds_swizzle_b32 v11, v11 offset:swizzle(SWAP,1)
	s_waitcnt vmcnt(2)
	ds_swizzle_b32 v1, v1 offset:swizzle(SWAP,2)
	;; [unrolled: 2-line block ×3, first 2 shown]
	scratch_store_b32 v9, v20, off
	v_cndmask_b32_e64 v20, 0x74, v17, s1
	scratch_load_b32 v9, v28, off
	v_cndmask_b32_e64 v17, 0x78, v17, s2
	s_waitcnt vmcnt(1)
	ds_swizzle_b32 v13, v13 offset:swizzle(SWAP,1)
	s_waitcnt lgkmcnt(2)
	scratch_store_b32 v10, v1, off
	scratch_load_b32 v1, v20, off
	v_cndmask_b32_e64 v10, 0x50, v19, s2
	s_waitcnt lgkmcnt(1)
	scratch_store_b32 v2, v12, off
	scratch_load_b32 v2, v10, off
	s_waitcnt vmcnt(2)
	ds_swizzle_b32 v9, v9 offset:swizzle(SWAP,2)
	s_waitcnt vmcnt(1)
	ds_swizzle_b32 v1, v1 offset:swizzle(SWAP,2)
	;; [unrolled: 2-line block ×3, first 2 shown]
	s_waitcnt lgkmcnt(2)
	scratch_store_b32 v28, v9, off
	s_clause 0x2
	scratch_load_b32 v9, v3, off
	scratch_load_b32 v12, v4, off
	;; [unrolled: 1-line block ×3, first 2 shown]
	s_waitcnt lgkmcnt(1)
	scratch_store_b32 v20, v1, off
	s_clause 0x1
	scratch_load_b32 v1, v15, off
	scratch_load_b32 v20, v17, off
	s_clause 0x1
	scratch_store_b32 v18, v8, off
	scratch_store_b32 v7, v14, off
	scratch_load_b128 v[37:40], off, off offset:16
	s_waitcnt vmcnt(5)
	ds_swizzle_b32 v9, v9 offset:swizzle(SWAP,1)
	s_waitcnt vmcnt(4)
	ds_swizzle_b32 v12, v12 offset:swizzle(SWAP,1)
	;; [unrolled: 2-line block ×3, first 2 shown]
	s_clause 0x2
	scratch_store_b32 v24, v26, off
	scratch_store_b32 v22, v11, off
	;; [unrolled: 1-line block ×3, first 2 shown]
	s_waitcnt lgkmcnt(3)
	scratch_store_b32 v10, v2, off
	s_waitcnt lgkmcnt(2)
	scratch_store_b32 v3, v9, off
	s_waitcnt lgkmcnt(1)
	s_clause 0x1
	scratch_store_b32 v4, v12, off
	scratch_store_b32 v25, v5, off
	s_waitcnt lgkmcnt(0)
	scratch_store_b32 v6, v19, off
	s_waitcnt vmcnt(2)
	ds_swizzle_b32 v1, v1 offset:swizzle(SWAP,1)
	s_waitcnt vmcnt(1)
	ds_swizzle_b32 v7, v20 offset:swizzle(SWAP,1)
	s_clause 0x1
	scratch_load_b128 v[41:44], off, off offset:64
	scratch_load_b128 v[45:48], off, off offset:80
	s_clause 0x1
	scratch_store_b32 v21, v23, off
	scratch_store_b32 v30, v16, off
	s_clause 0x1
	scratch_load_b128 v[61:64], off, off offset:32
	scratch_load_b128 v[57:60], off, off offset:48
	s_waitcnt lgkmcnt(1)
	scratch_store_b32 v15, v1, off
	s_waitcnt lgkmcnt(0)
	scratch_store_b32 v17, v7, off
	s_clause 0x1
	scratch_load_b128 v[53:56], off, off offset:96
	scratch_load_b128 v[49:52], off, off offset:112
.LBB36_4:
	v_lshlrev_b32_e32 v0, 2, v0
	global_store_b128 v0, v[33:36], s[6:7]
	s_waitcnt vmcnt(6)
	global_store_b128 v0, v[37:40], s[6:7] offset:16
	s_waitcnt vmcnt(3)
	global_store_b128 v0, v[61:64], s[6:7] offset:32
	s_waitcnt vmcnt(2)
	s_clause 0x2
	global_store_b128 v0, v[57:60], s[6:7] offset:48
	global_store_b128 v0, v[41:44], s[6:7] offset:64
	;; [unrolled: 1-line block ×3, first 2 shown]
	s_waitcnt vmcnt(1)
	global_store_b128 v0, v[53:56], s[6:7] offset:96
	s_waitcnt vmcnt(0)
	global_store_b128 v0, v[49:52], s[6:7] offset:112
	s_endpgm
	.section	.rodata,"a",@progbits
	.p2align	6, 0x0
	.amdhsa_kernel _Z20warp_exchange_kernelILj32ELj32EN6common25BlockedToStripedShuffleOpEfEvPT2_S3_b
		.amdhsa_group_segment_fixed_size 0
		.amdhsa_private_segment_fixed_size 144
		.amdhsa_kernarg_size 20
		.amdhsa_user_sgpr_count 15
		.amdhsa_user_sgpr_dispatch_ptr 0
		.amdhsa_user_sgpr_queue_ptr 0
		.amdhsa_user_sgpr_kernarg_segment_ptr 1
		.amdhsa_user_sgpr_dispatch_id 0
		.amdhsa_user_sgpr_private_segment_size 0
		.amdhsa_wavefront_size32 1
		.amdhsa_uses_dynamic_stack 0
		.amdhsa_enable_private_segment 1
		.amdhsa_system_sgpr_workgroup_id_x 1
		.amdhsa_system_sgpr_workgroup_id_y 0
		.amdhsa_system_sgpr_workgroup_id_z 0
		.amdhsa_system_sgpr_workgroup_info 0
		.amdhsa_system_vgpr_workitem_id 0
		.amdhsa_next_free_vgpr 69
		.amdhsa_next_free_sgpr 8
		.amdhsa_reserve_vcc 1
		.amdhsa_float_round_mode_32 0
		.amdhsa_float_round_mode_16_64 0
		.amdhsa_float_denorm_mode_32 3
		.amdhsa_float_denorm_mode_16_64 3
		.amdhsa_dx10_clamp 1
		.amdhsa_ieee_mode 1
		.amdhsa_fp16_overflow 0
		.amdhsa_workgroup_processor_mode 1
		.amdhsa_memory_ordered 1
		.amdhsa_forward_progress 0
		.amdhsa_shared_vgpr_count 0
		.amdhsa_exception_fp_ieee_invalid_op 0
		.amdhsa_exception_fp_denorm_src 0
		.amdhsa_exception_fp_ieee_div_zero 0
		.amdhsa_exception_fp_ieee_overflow 0
		.amdhsa_exception_fp_ieee_underflow 0
		.amdhsa_exception_fp_ieee_inexact 0
		.amdhsa_exception_int_div_zero 0
	.end_amdhsa_kernel
	.section	.text._Z20warp_exchange_kernelILj32ELj32EN6common25BlockedToStripedShuffleOpEfEvPT2_S3_b,"axG",@progbits,_Z20warp_exchange_kernelILj32ELj32EN6common25BlockedToStripedShuffleOpEfEvPT2_S3_b,comdat
.Lfunc_end36:
	.size	_Z20warp_exchange_kernelILj32ELj32EN6common25BlockedToStripedShuffleOpEfEvPT2_S3_b, .Lfunc_end36-_Z20warp_exchange_kernelILj32ELj32EN6common25BlockedToStripedShuffleOpEfEvPT2_S3_b
                                        ; -- End function
	.section	.AMDGPU.csdata,"",@progbits
; Kernel info:
; codeLenInByte = 7684
; NumSgprs: 10
; NumVgprs: 69
; ScratchSize: 144
; MemoryBound: 1
; FloatMode: 240
; IeeeMode: 1
; LDSByteSize: 0 bytes/workgroup (compile time only)
; SGPRBlocks: 1
; VGPRBlocks: 8
; NumSGPRsForWavesPerEU: 10
; NumVGPRsForWavesPerEU: 69
; Occupancy: 16
; WaveLimiterHint : 0
; COMPUTE_PGM_RSRC2:SCRATCH_EN: 1
; COMPUTE_PGM_RSRC2:USER_SGPR: 15
; COMPUTE_PGM_RSRC2:TRAP_HANDLER: 0
; COMPUTE_PGM_RSRC2:TGID_X_EN: 1
; COMPUTE_PGM_RSRC2:TGID_Y_EN: 0
; COMPUTE_PGM_RSRC2:TGID_Z_EN: 0
; COMPUTE_PGM_RSRC2:TIDIG_COMP_CNT: 0
	.section	.text._Z20warp_exchange_kernelILj8ELj8EN6common25BlockedToStripedShuffleOpElEvPT2_S3_b,"axG",@progbits,_Z20warp_exchange_kernelILj8ELj8EN6common25BlockedToStripedShuffleOpElEvPT2_S3_b,comdat
	.protected	_Z20warp_exchange_kernelILj8ELj8EN6common25BlockedToStripedShuffleOpElEvPT2_S3_b ; -- Begin function _Z20warp_exchange_kernelILj8ELj8EN6common25BlockedToStripedShuffleOpElEvPT2_S3_b
	.globl	_Z20warp_exchange_kernelILj8ELj8EN6common25BlockedToStripedShuffleOpElEvPT2_S3_b
	.p2align	8
	.type	_Z20warp_exchange_kernelILj8ELj8EN6common25BlockedToStripedShuffleOpElEvPT2_S3_b,@function
_Z20warp_exchange_kernelILj8ELj8EN6common25BlockedToStripedShuffleOpElEvPT2_S3_b: ; @_Z20warp_exchange_kernelILj8ELj8EN6common25BlockedToStripedShuffleOpElEvPT2_S3_b
; %bb.0:
	s_load_b128 s[4:7], s[2:3], 0x0
	v_and_b32_e32 v17, 0x3ff, v0
	s_load_b32 s2, s[2:3], 0x10
	v_mbcnt_lo_u32_b32 v18, -1, 0
	s_delay_alu instid0(VALU_DEP_2) | instskip(SKIP_1) | instid1(VALU_DEP_3)
	v_lshlrev_b32_e32 v13, 6, v17
	v_lshlrev_b32_e32 v33, 3, v17
	v_and_b32_e32 v19, 4, v18
	v_and_b32_e32 v36, 2, v18
	v_and_b32_e32 v34, 1, v18
	s_waitcnt lgkmcnt(0)
	s_clause 0x3
	global_load_b128 v[1:4], v13, s[4:5] offset:48
	global_load_b128 v[5:8], v13, s[4:5] offset:32
	;; [unrolled: 1-line block ×3, first 2 shown]
	global_load_b128 v[13:16], v13, s[4:5]
	v_lshlrev_b32_e32 v20, 3, v19
	v_cmp_eq_u32_e32 vcc_lo, 0, v19
	s_bitcmp0_b32 s2, 0
	s_mov_b32 s2, -1
	s_delay_alu instid0(VALU_DEP_2)
	v_xor_b32_e32 v39, 32, v20
	v_cndmask_b32_e64 v38, 8, 40, vcc_lo
	v_cndmask_b32_e64 v37, 16, 48, vcc_lo
	;; [unrolled: 1-line block ×3, first 2 shown]
	s_cbranch_scc0 .LBB37_2
; %bb.1:
	s_load_b64 s[0:1], s[0:1], 0x4
	v_bfe_u32 v18, v0, 10, 10
	v_bfe_u32 v0, v0, 20, 10
	v_cmp_eq_u32_e32 vcc_lo, 0, v36
	v_cndmask_b32_e64 v24, 32, 48, vcc_lo
	v_cndmask_b32_e64 v23, 8, 24, vcc_lo
	s_waitcnt lgkmcnt(0)
	s_lshr_b32 s0, s0, 16
	s_delay_alu instid0(SALU_CYCLE_1) | instskip(NEXT) | instid1(SALU_CYCLE_1)
	s_mul_i32 s0, s0, s1
	v_mul_lo_u32 v17, s0, v17
	s_delay_alu instid0(VALU_DEP_1) | instskip(NEXT) | instid1(VALU_DEP_1)
	v_mad_u32_u24 v17, v18, s1, v17
	v_add_lshl_u32 v0, v17, v0, 6
	s_waitcnt vmcnt(0)
	ds_store_b128 v0, v[13:16]
	ds_store_b128 v0, v[9:12] offset:16
	ds_store_b128 v0, v[5:8] offset:32
	v_or_b32_e32 v19, v0, v39
	v_or_b32_e32 v20, v0, v38
	;; [unrolled: 1-line block ×4, first 2 shown]
	ds_load_b64 v[17:18], v19
	s_waitcnt lgkmcnt(0)
	ds_swizzle_b32 v17, v17 offset:swizzle(SWAP,4)
	ds_swizzle_b32 v18, v18 offset:swizzle(SWAP,4)
	s_waitcnt lgkmcnt(0)
	ds_store_b64 v19, v[17:18]
	ds_load_b64 v[17:18], v20
	v_or_b32_e32 v19, v0, v37
	s_waitcnt lgkmcnt(0)
	ds_swizzle_b32 v17, v17 offset:swizzle(SWAP,4)
	ds_swizzle_b32 v18, v18 offset:swizzle(SWAP,4)
	ds_store_b128 v0, v[1:4] offset:48
	s_waitcnt lgkmcnt(1)
	ds_store_b64 v20, v[17:18]
	ds_load_b64 v[17:18], v19
	s_waitcnt lgkmcnt(0)
	ds_swizzle_b32 v17, v17 offset:swizzle(SWAP,4)
	ds_swizzle_b32 v18, v18 offset:swizzle(SWAP,4)
	s_waitcnt lgkmcnt(0)
	ds_store_b64 v19, v[17:18]
	ds_load_b64 v[17:18], v21
	v_lshlrev_b32_e32 v19, 3, v36
	s_delay_alu instid0(VALU_DEP_1) | instskip(NEXT) | instid1(VALU_DEP_1)
	v_xor_b32_e32 v19, 16, v19
	v_or_b32_e32 v22, v0, v19
	ds_load_b64 v[19:20], v22
	s_waitcnt lgkmcnt(1)
	ds_swizzle_b32 v17, v17 offset:swizzle(SWAP,4)
	ds_swizzle_b32 v18, v18 offset:swizzle(SWAP,4)
	s_waitcnt lgkmcnt(2)
	ds_swizzle_b32 v19, v19 offset:swizzle(SWAP,2)
	ds_swizzle_b32 v20, v20 offset:swizzle(SWAP,2)
	s_waitcnt lgkmcnt(2)
	ds_store_b64 v21, v[17:18]
	ds_load_b64 v[17:18], v24
	v_or_b32_e32 v21, v0, v23
	s_waitcnt lgkmcnt(0)
	ds_swizzle_b32 v17, v17 offset:swizzle(SWAP,2)
	ds_swizzle_b32 v18, v18 offset:swizzle(SWAP,2)
	ds_store_b64 v22, v[19:20]
	v_cndmask_b32_e64 v22, 40, 56, vcc_lo
	ds_load_b64 v[19:20], v21
	v_cmp_eq_u32_e32 vcc_lo, 0, v34
	v_or_b32_e32 v23, v0, v22
	v_lshlrev_b32_e32 v22, 3, v34
	v_cndmask_b32_e64 v25, 48, 56, vcc_lo
	s_delay_alu instid0(VALU_DEP_2) | instskip(NEXT) | instid1(VALU_DEP_2)
	v_xor_b32_e32 v22, 8, v22
	v_or_b32_e32 v32, v0, v25
	s_delay_alu instid0(VALU_DEP_2)
	v_or_b32_e32 v29, v0, v22
	s_waitcnt lgkmcnt(2)
	ds_store_b64 v24, v[17:18]
	ds_load_b64 v[17:18], v23
	v_cndmask_b32_e64 v24, 16, 24, vcc_lo
	s_waitcnt lgkmcnt(2)
	ds_swizzle_b32 v19, v19 offset:swizzle(SWAP,2)
	ds_swizzle_b32 v20, v20 offset:swizzle(SWAP,2)
	v_or_b32_e32 v30, v0, v24
	v_cndmask_b32_e64 v24, 32, 40, vcc_lo
	s_delay_alu instid0(VALU_DEP_1)
	v_or_b32_e32 v31, v0, v24
	s_waitcnt lgkmcnt(2)
	ds_swizzle_b32 v17, v17 offset:swizzle(SWAP,2)
	ds_swizzle_b32 v18, v18 offset:swizzle(SWAP,2)
	s_waitcnt lgkmcnt(2)
	ds_store_b64 v21, v[19:20]
	ds_load_b64 v[19:20], v29
	ds_load_b64 v[21:22], v30
	s_waitcnt lgkmcnt(3)
	ds_store_b64 v23, v[17:18]
	ds_load_b64 v[17:18], v31
	ds_load_b64 v[23:24], v32
	s_waitcnt lgkmcnt(4)
	ds_swizzle_b32 v19, v19 offset:swizzle(SWAP,1)
	ds_swizzle_b32 v20, v20 offset:swizzle(SWAP,1)
	s_waitcnt lgkmcnt(5)
	ds_swizzle_b32 v21, v21 offset:swizzle(SWAP,1)
	ds_swizzle_b32 v22, v22 offset:swizzle(SWAP,1)
	s_waitcnt lgkmcnt(2)
	ds_store_b64 v29, v[19:20]
	s_waitcnt lgkmcnt(1)
	ds_store_b64 v30, v[21:22]
	ds_swizzle_b32 v25, v17 offset:swizzle(SWAP,1)
	ds_swizzle_b32 v26, v18 offset:swizzle(SWAP,1)
	;; [unrolled: 1-line block ×4, first 2 shown]
	ds_load_b128 v[17:20], v0
	ds_load_b128 v[21:24], v0 offset:16
	s_waitcnt lgkmcnt(4)
	ds_store_b64 v31, v[25:26]
	s_waitcnt lgkmcnt(3)
	ds_store_b64 v32, v[27:28]
	ds_load_b128 v[25:28], v0 offset:32
	ds_load_b128 v[29:32], v0 offset:48
	s_cbranch_execz .LBB37_3
	s_branch .LBB37_4
.LBB37_2:
                                        ; implicit-def: $vgpr31_vgpr32
                                        ; implicit-def: $vgpr27_vgpr28
                                        ; implicit-def: $vgpr23_vgpr24
                                        ; implicit-def: $vgpr19_vgpr20
	s_and_not1_b32 vcc_lo, exec_lo, s2
	s_cbranch_vccnz .LBB37_4
.LBB37_3:
	s_waitcnt vmcnt(0)
	s_clause 0x2
	scratch_store_b128 off, v[13:16], off
	scratch_store_b128 off, v[9:12], off offset:16
	scratch_store_b128 off, v[5:8], off offset:32
	scratch_load_b64 v[5:6], v39, off
	v_cmp_eq_u32_e32 vcc_lo, 0, v36
	v_cndmask_b32_e64 v7, 40, 56, vcc_lo
	s_waitcnt vmcnt(0)
	ds_swizzle_b32 v5, v5 offset:swizzle(SWAP,4)
	ds_swizzle_b32 v6, v6 offset:swizzle(SWAP,4)
	s_waitcnt lgkmcnt(0)
	scratch_store_b64 v39, v[5:6], off
	scratch_load_b64 v[5:6], v38, off
	s_waitcnt vmcnt(0)
	ds_swizzle_b32 v5, v5 offset:swizzle(SWAP,4)
	ds_swizzle_b32 v6, v6 offset:swizzle(SWAP,4)
	scratch_store_b128 off, v[1:4], off offset:48
	s_waitcnt lgkmcnt(0)
	scratch_store_b64 v38, v[5:6], off
	scratch_load_b64 v[0:1], v37, off
	v_lshlrev_b32_e32 v2, 3, v36
	v_cndmask_b32_e64 v6, 32, 48, vcc_lo
	v_cndmask_b32_e64 v5, 8, 24, vcc_lo
	v_cmp_eq_u32_e32 vcc_lo, 0, v34
	s_delay_alu instid0(VALU_DEP_4)
	v_xor_b32_e32 v4, 16, v2
	v_cndmask_b32_e64 v9, 16, 24, vcc_lo
	v_cndmask_b32_e64 v10, 32, 40, vcc_lo
	;; [unrolled: 1-line block ×3, first 2 shown]
	s_waitcnt vmcnt(0)
	ds_swizzle_b32 v0, v0 offset:swizzle(SWAP,4)
	ds_swizzle_b32 v1, v1 offset:swizzle(SWAP,4)
	s_waitcnt lgkmcnt(0)
	scratch_store_b64 v37, v[0:1], off
	s_clause 0x1
	scratch_load_b64 v[0:1], v35, off
	scratch_load_b64 v[2:3], v4, off
	s_waitcnt vmcnt(1)
	ds_swizzle_b32 v0, v0 offset:swizzle(SWAP,4)
	ds_swizzle_b32 v1, v1 offset:swizzle(SWAP,4)
	s_waitcnt lgkmcnt(0)
	scratch_store_b64 v35, v[0:1], off
	scratch_load_b64 v[0:1], v6, off
	s_waitcnt vmcnt(1)
	ds_swizzle_b32 v2, v2 offset:swizzle(SWAP,2)
	ds_swizzle_b32 v3, v3 offset:swizzle(SWAP,2)
	s_waitcnt vmcnt(0)
	ds_swizzle_b32 v0, v0 offset:swizzle(SWAP,2)
	ds_swizzle_b32 v1, v1 offset:swizzle(SWAP,2)
	s_waitcnt lgkmcnt(2)
	scratch_store_b64 v4, v[2:3], off
	scratch_load_b64 v[2:3], v5, off
	v_lshlrev_b32_e32 v4, 3, v34
	s_delay_alu instid0(VALU_DEP_1) | instskip(NEXT) | instid1(VALU_DEP_1)
	v_xor_b32_e32 v4, 8, v4
	v_or_b32_e32 v8, 0, v4
	s_waitcnt lgkmcnt(0)
	scratch_store_b64 v6, v[0:1], off
	scratch_load_b64 v[0:1], v7, off
	s_waitcnt vmcnt(1)
	ds_swizzle_b32 v2, v2 offset:swizzle(SWAP,2)
	ds_swizzle_b32 v3, v3 offset:swizzle(SWAP,2)
	s_waitcnt vmcnt(0)
	ds_swizzle_b32 v0, v0 offset:swizzle(SWAP,2)
	ds_swizzle_b32 v1, v1 offset:swizzle(SWAP,2)
	s_waitcnt lgkmcnt(2)
	scratch_store_b64 v5, v[2:3], off
	s_clause 0x1
	scratch_load_b64 v[2:3], v8, off
	scratch_load_b64 v[4:5], v9, off
	s_waitcnt lgkmcnt(0)
	scratch_store_b64 v7, v[0:1], off
	s_clause 0x1
	scratch_load_b64 v[0:1], v10, off
	scratch_load_b64 v[6:7], v11, off
	s_waitcnt vmcnt(3)
	ds_swizzle_b32 v2, v2 offset:swizzle(SWAP,1)
	ds_swizzle_b32 v3, v3 offset:swizzle(SWAP,1)
	s_waitcnt vmcnt(2)
	ds_swizzle_b32 v4, v4 offset:swizzle(SWAP,1)
	ds_swizzle_b32 v5, v5 offset:swizzle(SWAP,1)
	s_waitcnt lgkmcnt(2)
	scratch_store_b64 v8, v[2:3], off
	s_waitcnt lgkmcnt(0)
	scratch_store_b64 v9, v[4:5], off
	s_waitcnt vmcnt(1)
	ds_swizzle_b32 v0, v0 offset:swizzle(SWAP,1)
	ds_swizzle_b32 v1, v1 offset:swizzle(SWAP,1)
	s_waitcnt vmcnt(0)
	ds_swizzle_b32 v6, v6 offset:swizzle(SWAP,1)
	ds_swizzle_b32 v7, v7 offset:swizzle(SWAP,1)
	s_clause 0x1
	scratch_load_b128 v[17:20], off, off
	scratch_load_b128 v[21:24], off, off offset:16
	s_waitcnt lgkmcnt(2)
	scratch_store_b64 v10, v[0:1], off
	s_waitcnt lgkmcnt(0)
	scratch_store_b64 v11, v[6:7], off
	s_clause 0x1
	scratch_load_b128 v[25:28], off, off offset:32
	scratch_load_b128 v[29:32], off, off offset:48
.LBB37_4:
	v_lshlrev_b32_e32 v0, 3, v33
	s_waitcnt vmcnt(3) lgkmcnt(5)
	global_store_b128 v0, v[17:20], s[6:7]
	s_waitcnt vmcnt(2) lgkmcnt(4)
	global_store_b128 v0, v[21:24], s[6:7] offset:16
	s_waitcnt vmcnt(1) lgkmcnt(1)
	global_store_b128 v0, v[25:28], s[6:7] offset:32
	;; [unrolled: 2-line block ×3, first 2 shown]
	s_endpgm
	.section	.rodata,"a",@progbits
	.p2align	6, 0x0
	.amdhsa_kernel _Z20warp_exchange_kernelILj8ELj8EN6common25BlockedToStripedShuffleOpElEvPT2_S3_b
		.amdhsa_group_segment_fixed_size 65536
		.amdhsa_private_segment_fixed_size 80
		.amdhsa_kernarg_size 20
		.amdhsa_user_sgpr_count 15
		.amdhsa_user_sgpr_dispatch_ptr 1
		.amdhsa_user_sgpr_queue_ptr 0
		.amdhsa_user_sgpr_kernarg_segment_ptr 1
		.amdhsa_user_sgpr_dispatch_id 0
		.amdhsa_user_sgpr_private_segment_size 0
		.amdhsa_wavefront_size32 1
		.amdhsa_uses_dynamic_stack 0
		.amdhsa_enable_private_segment 1
		.amdhsa_system_sgpr_workgroup_id_x 1
		.amdhsa_system_sgpr_workgroup_id_y 0
		.amdhsa_system_sgpr_workgroup_id_z 0
		.amdhsa_system_sgpr_workgroup_info 0
		.amdhsa_system_vgpr_workitem_id 2
		.amdhsa_next_free_vgpr 40
		.amdhsa_next_free_sgpr 8
		.amdhsa_reserve_vcc 1
		.amdhsa_float_round_mode_32 0
		.amdhsa_float_round_mode_16_64 0
		.amdhsa_float_denorm_mode_32 3
		.amdhsa_float_denorm_mode_16_64 3
		.amdhsa_dx10_clamp 1
		.amdhsa_ieee_mode 1
		.amdhsa_fp16_overflow 0
		.amdhsa_workgroup_processor_mode 1
		.amdhsa_memory_ordered 1
		.amdhsa_forward_progress 0
		.amdhsa_shared_vgpr_count 0
		.amdhsa_exception_fp_ieee_invalid_op 0
		.amdhsa_exception_fp_denorm_src 0
		.amdhsa_exception_fp_ieee_div_zero 0
		.amdhsa_exception_fp_ieee_overflow 0
		.amdhsa_exception_fp_ieee_underflow 0
		.amdhsa_exception_fp_ieee_inexact 0
		.amdhsa_exception_int_div_zero 0
	.end_amdhsa_kernel
	.section	.text._Z20warp_exchange_kernelILj8ELj8EN6common25BlockedToStripedShuffleOpElEvPT2_S3_b,"axG",@progbits,_Z20warp_exchange_kernelILj8ELj8EN6common25BlockedToStripedShuffleOpElEvPT2_S3_b,comdat
.Lfunc_end37:
	.size	_Z20warp_exchange_kernelILj8ELj8EN6common25BlockedToStripedShuffleOpElEvPT2_S3_b, .Lfunc_end37-_Z20warp_exchange_kernelILj8ELj8EN6common25BlockedToStripedShuffleOpElEvPT2_S3_b
                                        ; -- End function
	.section	.AMDGPU.csdata,"",@progbits
; Kernel info:
; codeLenInByte = 1616
; NumSgprs: 10
; NumVgprs: 40
; ScratchSize: 80
; MemoryBound: 1
; FloatMode: 240
; IeeeMode: 1
; LDSByteSize: 65536 bytes/workgroup (compile time only)
; SGPRBlocks: 1
; VGPRBlocks: 4
; NumSGPRsForWavesPerEU: 10
; NumVGPRsForWavesPerEU: 40
; Occupancy: 16
; WaveLimiterHint : 0
; COMPUTE_PGM_RSRC2:SCRATCH_EN: 1
; COMPUTE_PGM_RSRC2:USER_SGPR: 15
; COMPUTE_PGM_RSRC2:TRAP_HANDLER: 0
; COMPUTE_PGM_RSRC2:TGID_X_EN: 1
; COMPUTE_PGM_RSRC2:TGID_Y_EN: 0
; COMPUTE_PGM_RSRC2:TGID_Z_EN: 0
; COMPUTE_PGM_RSRC2:TIDIG_COMP_CNT: 2
	.section	.text._Z20warp_exchange_kernelILj32ELj32EN6common25BlockedToStripedShuffleOpEsEvPT2_S3_b,"axG",@progbits,_Z20warp_exchange_kernelILj32ELj32EN6common25BlockedToStripedShuffleOpEsEvPT2_S3_b,comdat
	.protected	_Z20warp_exchange_kernelILj32ELj32EN6common25BlockedToStripedShuffleOpEsEvPT2_S3_b ; -- Begin function _Z20warp_exchange_kernelILj32ELj32EN6common25BlockedToStripedShuffleOpEsEvPT2_S3_b
	.globl	_Z20warp_exchange_kernelILj32ELj32EN6common25BlockedToStripedShuffleOpEsEvPT2_S3_b
	.p2align	8
	.type	_Z20warp_exchange_kernelILj32ELj32EN6common25BlockedToStripedShuffleOpEsEvPT2_S3_b,@function
_Z20warp_exchange_kernelILj32ELj32EN6common25BlockedToStripedShuffleOpEsEvPT2_S3_b: ; @_Z20warp_exchange_kernelILj32ELj32EN6common25BlockedToStripedShuffleOpEsEvPT2_S3_b
; %bb.0:
	s_load_b128 s[4:7], s[2:3], 0x0
	v_and_b32_e32 v17, 0x3ff, v0
	s_load_b32 s2, s[2:3], 0x10
	v_mbcnt_lo_u32_b32 v34, -1, 0
	s_mov_b32 s3, 0
	s_delay_alu instid0(VALU_DEP_2)
	v_lshlrev_b32_e32 v1, 6, v17
	v_lshlrev_b32_e32 v33, 5, v17
	s_waitcnt lgkmcnt(0)
	s_clause 0x3
	global_load_b128 v[13:16], v1, s[4:5]
	global_load_b128 v[9:12], v1, s[4:5] offset:16
	global_load_b128 v[5:8], v1, s[4:5] offset:32
	;; [unrolled: 1-line block ×3, first 2 shown]
	s_bitcmp0_b32 s2, 0
	s_cbranch_scc0 .LBB38_2
; %bb.1:
	s_load_b64 s[0:1], s[0:1], 0x4
	v_and_b32_e32 v18, 16, v34
	v_bfe_u32 v19, v0, 10, 10
	v_bfe_u32 v0, v0, 20, 10
	s_delay_alu instid0(VALU_DEP_3) | instskip(SKIP_2) | instid1(SALU_CYCLE_1)
	v_lshlrev_b32_e32 v20, 1, v18
	s_waitcnt lgkmcnt(0)
	s_lshr_b32 s0, s0, 16
	s_mul_i32 s0, s0, s1
	s_delay_alu instid0(SALU_CYCLE_1) | instskip(SKIP_1) | instid1(VALU_DEP_1)
	v_mul_lo_u32 v17, s0, v17
	v_cmp_eq_u32_e64 s0, 0, v18
	v_cndmask_b32_e64 v18, 2, 34, s0
	v_cndmask_b32_e64 v22, 20, 52, s0
	s_delay_alu instid0(VALU_DEP_4) | instskip(SKIP_3) | instid1(VALU_DEP_4)
	v_mad_u32_u24 v17, v19, s1, v17
	v_xor_b32_e32 v19, 32, v20
	v_and_b32_e32 v20, 8, v34
	v_cndmask_b32_e64 v24, 30, 62, s0
	v_add_lshl_u32 v0, v17, v0, 6
	s_waitcnt vmcnt(3)
	ds_store_b128 v0, v[13:16]
	s_waitcnt vmcnt(2)
	ds_store_b128 v0, v[9:12] offset:16
	s_waitcnt vmcnt(1)
	ds_store_b128 v0, v[5:8] offset:32
	v_or_b32_e32 v17, v0, v19
	v_or_b32_e32 v18, v0, v18
	v_lshlrev_b32_e32 v21, 1, v20
	v_or_b32_e32 v22, v0, v22
	v_cmp_eq_u32_e32 vcc_lo, 0, v20
	ds_load_u16 v19, v17
	v_cndmask_b32_e64 v20, 22, 54, s0
	v_or_b32_e32 v24, v0, v24
	v_cndmask_b32_e64 v23, 10, 26, vcc_lo
	s_delay_alu instid0(VALU_DEP_3) | instskip(NEXT) | instid1(VALU_DEP_2)
	v_or_b32_e32 v20, v0, v20
	v_or_b32_e32 v23, v0, v23
	s_waitcnt lgkmcnt(0)
	ds_swizzle_b32 v19, v19 offset:swizzle(SWAP,16)
	s_waitcnt lgkmcnt(0)
	ds_store_b16 v17, v19
	ds_load_u16 v17, v18
	v_cndmask_b32_e64 v19, 4, 36, s0
	s_delay_alu instid0(VALU_DEP_1)
	v_or_b32_e32 v19, v0, v19
	s_waitcnt lgkmcnt(0)
	ds_swizzle_b32 v17, v17 offset:swizzle(SWAP,16)
	s_waitcnt lgkmcnt(0)
	ds_store_b16 v18, v17
	ds_load_u16 v17, v19
	v_cndmask_b32_e64 v18, 6, 38, s0
	s_delay_alu instid0(VALU_DEP_1)
	;; [unrolled: 8-line block ×7, first 2 shown]
	v_or_b32_e32 v19, v0, v19
	s_waitcnt lgkmcnt(0)
	ds_swizzle_b32 v17, v17 offset:swizzle(SWAP,16)
	s_waitcnt vmcnt(0)
	ds_store_b128 v0, v[1:4] offset:48
	s_waitcnt lgkmcnt(1)
	ds_store_b16 v18, v17
	ds_load_u16 v17, v19
	v_cndmask_b32_e64 v18, 18, 50, s0
	s_delay_alu instid0(VALU_DEP_1)
	v_or_b32_e32 v18, v0, v18
	s_waitcnt lgkmcnt(0)
	ds_swizzle_b32 v17, v17 offset:swizzle(SWAP,16)
	s_waitcnt lgkmcnt(0)
	ds_store_b16 v19, v17
	ds_load_u16 v17, v18
	v_xor_b32_e32 v19, 16, v21
	s_delay_alu instid0(VALU_DEP_1)
	v_or_b32_e32 v19, v0, v19
	ds_load_u16 v21, v19
	s_waitcnt lgkmcnt(1)
	ds_swizzle_b32 v17, v17 offset:swizzle(SWAP,16)
	s_waitcnt lgkmcnt(1)
	ds_swizzle_b32 v21, v21 offset:swizzle(SWAP,8)
	s_waitcnt lgkmcnt(1)
	ds_store_b16 v18, v17
	ds_load_u16 v17, v22
	v_cndmask_b32_e64 v18, 2, 18, vcc_lo
	s_delay_alu instid0(VALU_DEP_1)
	v_or_b32_e32 v18, v0, v18
	s_waitcnt lgkmcnt(0)
	ds_swizzle_b32 v17, v17 offset:swizzle(SWAP,16)
	ds_store_b16 v19, v21
	ds_load_u16 v19, v18
	v_cndmask_b32_e64 v21, 4, 20, vcc_lo
	s_delay_alu instid0(VALU_DEP_1)
	v_or_b32_e32 v21, v0, v21
	s_waitcnt lgkmcnt(2)
	ds_store_b16 v22, v17
	ds_load_u16 v17, v20
	s_waitcnt lgkmcnt(2)
	ds_swizzle_b32 v19, v19 offset:swizzle(SWAP,8)
	v_and_b32_e32 v22, 4, v34
	s_waitcnt lgkmcnt(1)
	ds_swizzle_b32 v17, v17 offset:swizzle(SWAP,16)
	s_waitcnt lgkmcnt(1)
	ds_store_b16 v18, v19
	ds_load_u16 v18, v21
	v_cndmask_b32_e64 v19, 24, 56, s0
	s_delay_alu instid0(VALU_DEP_1)
	v_or_b32_e32 v19, v0, v19
	s_waitcnt lgkmcnt(0)
	ds_swizzle_b32 v18, v18 offset:swizzle(SWAP,8)
	ds_store_b16 v20, v17
	ds_load_u16 v17, v19
	v_cndmask_b32_e64 v20, 6, 22, vcc_lo
	s_delay_alu instid0(VALU_DEP_1)
	v_or_b32_e32 v20, v0, v20
	s_waitcnt lgkmcnt(2)
	ds_store_b16 v21, v18
	ds_load_u16 v18, v20
	s_waitcnt lgkmcnt(2)
	ds_swizzle_b32 v17, v17 offset:swizzle(SWAP,16)
	v_cndmask_b32_e64 v21, 26, 58, s0
	s_delay_alu instid0(VALU_DEP_1)
	v_or_b32_e32 v21, v0, v21
	s_waitcnt lgkmcnt(1)
	ds_swizzle_b32 v18, v18 offset:swizzle(SWAP,8)
	s_waitcnt lgkmcnt(1)
	ds_store_b16 v19, v17
	ds_load_u16 v17, v21
	v_cndmask_b32_e64 v19, 8, 24, vcc_lo
	s_delay_alu instid0(VALU_DEP_1)
	v_or_b32_e32 v19, v0, v19
	s_waitcnt lgkmcnt(0)
	ds_swizzle_b32 v17, v17 offset:swizzle(SWAP,16)
	ds_store_b16 v20, v18
	ds_load_u16 v18, v19
	v_cndmask_b32_e64 v20, 28, 60, s0
	v_cmp_eq_u32_e64 s0, 0, v22
	s_delay_alu instid0(VALU_DEP_2) | instskip(NEXT) | instid1(VALU_DEP_2)
	v_or_b32_e32 v20, v0, v20
	v_cndmask_b32_e64 v25, 6, 14, s0
	s_delay_alu instid0(VALU_DEP_1)
	v_or_b32_e32 v25, v0, v25
	s_waitcnt lgkmcnt(2)
	ds_store_b16 v21, v17
	ds_load_u16 v17, v20
	s_waitcnt lgkmcnt(2)
	ds_swizzle_b32 v18, v18 offset:swizzle(SWAP,8)
	v_lshlrev_b32_e32 v21, 1, v22
	v_cndmask_b32_e64 v22, 2, 10, s0
	s_delay_alu instid0(VALU_DEP_2) | instskip(NEXT) | instid1(VALU_DEP_2)
	v_xor_b32_e32 v21, 8, v21
	v_or_b32_e32 v22, v0, v22
	s_delay_alu instid0(VALU_DEP_2)
	v_or_b32_e32 v21, v0, v21
	s_waitcnt lgkmcnt(1)
	ds_swizzle_b32 v17, v17 offset:swizzle(SWAP,16)
	s_waitcnt lgkmcnt(1)
	ds_store_b16 v19, v18
	ds_load_u16 v18, v23
	ds_load_u16 v19, v21
	s_waitcnt lgkmcnt(1)
	ds_swizzle_b32 v18, v18 offset:swizzle(SWAP,8)
	s_waitcnt lgkmcnt(1)
	ds_swizzle_b32 v19, v19 offset:swizzle(SWAP,4)
	ds_store_b16 v20, v17
	ds_load_u16 v17, v24
	v_cndmask_b32_e64 v20, 12, 28, vcc_lo
	s_delay_alu instid0(VALU_DEP_1)
	v_or_b32_e32 v20, v0, v20
	s_waitcnt lgkmcnt(2)
	ds_store_b16 v21, v19
	v_cndmask_b32_e64 v21, 32, 48, vcc_lo
	s_waitcnt lgkmcnt(1)
	ds_swizzle_b32 v17, v17 offset:swizzle(SWAP,16)
	ds_store_b16 v23, v18
	ds_load_u16 v18, v20
	ds_load_u16 v19, v22
	v_or_b32_e32 v21, v0, v21
	v_cndmask_b32_e64 v23, 14, 30, vcc_lo
	s_delay_alu instid0(VALU_DEP_1)
	v_or_b32_e32 v23, v0, v23
	s_waitcnt lgkmcnt(3)
	ds_store_b16 v24, v17
	ds_load_u16 v17, v21
	s_waitcnt lgkmcnt(3)
	ds_swizzle_b32 v18, v18 offset:swizzle(SWAP,8)
	v_cndmask_b32_e64 v24, 4, 12, s0
	s_delay_alu instid0(VALU_DEP_1)
	v_or_b32_e32 v24, v0, v24
	s_waitcnt lgkmcnt(1)
	ds_swizzle_b32 v17, v17 offset:swizzle(SWAP,8)
	s_waitcnt lgkmcnt(1)
	ds_store_b16 v20, v18
	v_cndmask_b32_e64 v20, 34, 50, vcc_lo
	ds_load_u16 v18, v23
	v_or_b32_e32 v20, v0, v20
	s_waitcnt lgkmcnt(2)
	ds_store_b16 v21, v17
	ds_load_u16 v17, v20
	ds_swizzle_b32 v19, v19 offset:swizzle(SWAP,4)
	s_waitcnt lgkmcnt(3)
	ds_swizzle_b32 v18, v18 offset:swizzle(SWAP,8)
	s_waitcnt lgkmcnt(2)
	;; [unrolled: 2-line block ×3, first 2 shown]
	ds_store_b16 v22, v19
	ds_load_u16 v19, v24
	v_and_b32_e32 v22, 2, v34
	s_delay_alu instid0(VALU_DEP_1) | instskip(SKIP_1) | instid1(VALU_DEP_2)
	v_lshlrev_b32_e32 v21, 1, v22
	v_cmp_eq_u32_e64 s1, 0, v22
	v_xor_b32_e32 v21, 4, v21
	s_delay_alu instid0(VALU_DEP_2)
	v_cndmask_b32_e64 v22, 2, 6, s1
	v_cndmask_b32_e64 v26, 8, 12, s1
	v_cndmask_b32_e64 v27, 10, 14, s1
	v_cndmask_b32_e64 v28, 16, 20, s1
	v_or_b32_e32 v21, v0, v21
	v_or_b32_e32 v22, v0, v22
	;; [unrolled: 1-line block ×4, first 2 shown]
	s_waitcnt lgkmcnt(0)
	ds_swizzle_b32 v19, v19 offset:swizzle(SWAP,4)
	v_or_b32_e32 v28, v0, v28
	v_cndmask_b32_e64 v30, 18, 22, s1
	v_cndmask_b32_e64 v36, 26, 30, s1
	;; [unrolled: 1-line block ×4, first 2 shown]
	ds_store_b16 v23, v18
	s_waitcnt lgkmcnt(1)
	ds_store_b16 v24, v19
	v_cndmask_b32_e64 v23, 36, 52, vcc_lo
	ds_load_u16 v18, v25
	ds_load_u16 v19, v21
	ds_store_b16 v20, v17
	v_cndmask_b32_e64 v20, 16, 24, s0
	v_or_b32_e32 v30, v0, v30
	v_or_b32_e32 v23, v0, v23
	;; [unrolled: 1-line block ×3, first 2 shown]
	s_delay_alu instid0(VALU_DEP_4)
	v_or_b32_e32 v20, v0, v20
	ds_load_u16 v17, v23
	ds_load_u16 v24, v20
	s_waitcnt lgkmcnt(4)
	ds_swizzle_b32 v18, v18 offset:swizzle(SWAP,4)
	s_waitcnt lgkmcnt(4)
	ds_swizzle_b32 v19, v19 offset:swizzle(SWAP,2)
	s_waitcnt lgkmcnt(1)
	ds_store_b16 v25, v18
	s_waitcnt lgkmcnt(1)
	ds_store_b16 v21, v19
	ds_swizzle_b32 v17, v17 offset:swizzle(SWAP,8)
	v_cndmask_b32_e64 v19, 38, 54, vcc_lo
	ds_load_u16 v18, v22
	ds_swizzle_b32 v21, v24 offset:swizzle(SWAP,4)
	v_cndmask_b32_e64 v25, 18, 26, s0
	v_and_b32_e32 v24, 1, v34
	v_or_b32_e32 v19, v0, v19
	s_delay_alu instid0(VALU_DEP_3) | instskip(NEXT) | instid1(VALU_DEP_3)
	v_or_b32_e32 v25, v0, v25
	v_cmp_eq_u32_e64 s2, 0, v24
	s_delay_alu instid0(VALU_DEP_1)
	v_cndmask_b32_e64 v29, 8, 10, s2
	v_cndmask_b32_e64 v31, 12, 14, s2
	;; [unrolled: 1-line block ×5, first 2 shown]
	s_waitcnt lgkmcnt(2)
	ds_store_b16 v23, v17
	ds_load_u16 v17, v19
	s_waitcnt lgkmcnt(3)
	ds_swizzle_b32 v18, v18 offset:swizzle(SWAP,2)
	s_waitcnt lgkmcnt(3)
	ds_store_b16 v20, v21
	v_lshlrev_b32_e32 v23, 1, v24
	ds_load_u16 v20, v25
	ds_load_u16 v21, v26
	v_cndmask_b32_e64 v24, 4, 6, s2
	v_or_b32_e32 v29, v0, v29
	v_or_b32_e32 v31, v0, v31
	v_xor_b32_e32 v23, 2, v23
	v_cndmask_b32_e64 v40, 28, 30, s2
	v_or_b32_e32 v24, v0, v24
	v_cndmask_b32_e64 v41, 32, 34, s2
	v_cndmask_b32_e64 v45, 36, 38, s2
	v_or_b32_e32 v23, v0, v23
	v_or_b32_e32 v40, v0, v40
	v_cndmask_b32_e64 v46, 44, 46, s2
	v_or_b32_e32 v41, v0, v41
	v_cndmask_b32_e64 v49, 56, 58, s2
	v_cndmask_b32_e64 v47, 48, 50, s2
	;; [unrolled: 1-line block ×3, first 2 shown]
	s_waitcnt lgkmcnt(4)
	ds_swizzle_b32 v17, v17 offset:swizzle(SWAP,8)
	s_waitcnt lgkmcnt(4)
	ds_store_b16 v22, v18
	v_cndmask_b32_e64 v22, 40, 56, vcc_lo
	ds_load_u16 v18, v23
	s_waitcnt lgkmcnt(4)
	ds_swizzle_b32 v20, v20 offset:swizzle(SWAP,4)
	s_waitcnt lgkmcnt(4)
	ds_swizzle_b32 v21, v21 offset:swizzle(SWAP,2)
	v_cndmask_b32_e64 v48, 52, 54, s2
	v_or_b32_e32 v22, v0, v22
	v_or_b32_e32 v46, v0, v46
	;; [unrolled: 1-line block ×6, first 2 shown]
	s_waitcnt lgkmcnt(4)
	ds_store_b16 v19, v17
	ds_load_u16 v17, v22
	v_cndmask_b32_e64 v19, 20, 28, s0
	s_waitcnt lgkmcnt(3)
	ds_store_b16 v25, v20
	s_waitcnt lgkmcnt(3)
	ds_store_b16 v26, v21
	v_cndmask_b32_e64 v26, 42, 58, vcc_lo
	ds_swizzle_b32 v18, v18 offset:swizzle(SWAP,1)
	v_or_b32_e32 v19, v0, v19
	ds_load_u16 v20, v19
	ds_load_u16 v21, v27
	;; [unrolled: 1-line block ×3, first 2 shown]
	v_or_b32_e32 v26, v0, v26
	s_waitcnt lgkmcnt(6)
	ds_swizzle_b32 v17, v17 offset:swizzle(SWAP,8)
	s_waitcnt lgkmcnt(3)
	ds_swizzle_b32 v20, v20 offset:swizzle(SWAP,4)
	;; [unrolled: 2-line block ×4, first 2 shown]
	s_waitcnt lgkmcnt(3)
	ds_store_b16 v22, v17
	ds_load_u16 v17, v26
	v_cndmask_b32_e64 v22, 22, 30, s0
	s_waitcnt lgkmcnt(4)
	ds_store_b16 v19, v20
	s_waitcnt lgkmcnt(4)
	ds_store_b16 v27, v21
	v_or_b32_e32 v22, v0, v22
	ds_load_u16 v19, v22
	ds_load_u16 v20, v28
	;; [unrolled: 1-line block ×3, first 2 shown]
	v_cndmask_b32_e64 v27, 44, 60, vcc_lo
	s_waitcnt lgkmcnt(5)
	ds_swizzle_b32 v17, v17 offset:swizzle(SWAP,8)
	v_or_b32_e32 v27, v0, v27
	s_waitcnt lgkmcnt(3)
	ds_swizzle_b32 v19, v19 offset:swizzle(SWAP,4)
	s_waitcnt lgkmcnt(3)
	ds_swizzle_b32 v20, v20 offset:swizzle(SWAP,2)
	;; [unrolled: 2-line block ×3, first 2 shown]
	s_waitcnt lgkmcnt(3)
	ds_store_b16 v26, v17
	v_cndmask_b32_e64 v26, 32, 40, s0
	ds_load_u16 v17, v27
	v_or_b32_e32 v26, v0, v26
	ds_load_u16 v32, v26
	s_waitcnt lgkmcnt(5)
	ds_store_b16 v22, v19
	s_waitcnt lgkmcnt(5)
	ds_store_b16 v28, v20
	ds_load_u16 v19, v30
	ds_load_u16 v20, v31
	v_cndmask_b32_e64 v22, 46, 62, vcc_lo
	s_delay_alu instid0(VALU_DEP_1)
	v_or_b32_e32 v22, v0, v22
	s_waitcnt lgkmcnt(5)
	ds_swizzle_b32 v17, v17 offset:swizzle(SWAP,8)
	s_waitcnt lgkmcnt(5)
	ds_swizzle_b32 v28, v32 offset:swizzle(SWAP,4)
	;; [unrolled: 2-line block ×3, first 2 shown]
	v_cndmask_b32_e64 v32, 24, 28, s1
	s_waitcnt lgkmcnt(3)
	ds_swizzle_b32 v20, v20 offset:swizzle(SWAP,1)
	s_waitcnt lgkmcnt(3)
	ds_store_b16 v27, v17
	v_cndmask_b32_e64 v27, 34, 42, s0
	ds_load_u16 v17, v22
	v_or_b32_e32 v27, v0, v27
	s_waitcnt lgkmcnt(4)
	ds_store_b16 v26, v28
	v_or_b32_e32 v28, v0, v32
	ds_load_u16 v26, v27
	v_or_b32_e32 v32, v0, v35
	s_waitcnt lgkmcnt(5)
	ds_store_b16 v30, v19
	ds_load_u16 v19, v28
	ds_load_u16 v30, v32
	v_cndmask_b32_e64 v35, 48, 56, s0
	s_waitcnt lgkmcnt(5)
	ds_swizzle_b32 v17, v17 offset:swizzle(SWAP,8)
	v_or_b32_e32 v35, v0, v35
	s_waitcnt lgkmcnt(4)
	ds_swizzle_b32 v26, v26 offset:swizzle(SWAP,4)
	s_waitcnt lgkmcnt(3)
	ds_swizzle_b32 v19, v19 offset:swizzle(SWAP,2)
	;; [unrolled: 2-line block ×3, first 2 shown]
	s_waitcnt lgkmcnt(3)
	ds_store_b16 v22, v17
	v_cndmask_b32_e64 v22, 36, 44, s0
	ds_load_u16 v17, v35
	v_or_b32_e32 v22, v0, v22
	s_waitcnt lgkmcnt(4)
	ds_store_b16 v27, v26
	v_or_b32_e32 v27, v0, v36
	ds_load_u16 v26, v22
	v_or_b32_e32 v36, v0, v37
	s_waitcnt lgkmcnt(5)
	ds_store_b16 v28, v19
	ds_load_u16 v19, v27
	ds_load_u16 v28, v36
	v_cndmask_b32_e64 v37, 50, 58, s0
	s_waitcnt lgkmcnt(5)
	ds_swizzle_b32 v17, v17 offset:swizzle(SWAP,4)
	v_or_b32_e32 v37, v0, v37
	s_waitcnt lgkmcnt(4)
	ds_swizzle_b32 v26, v26 offset:swizzle(SWAP,4)
	s_waitcnt lgkmcnt(3)
	ds_swizzle_b32 v19, v19 offset:swizzle(SWAP,2)
	;; [unrolled: 2-line block ×3, first 2 shown]
	s_waitcnt lgkmcnt(2)
	ds_store_b16 v22, v26
	ds_store_b16 v35, v17
	ds_load_u16 v17, v37
	v_cndmask_b32_e64 v35, 38, 46, s0
	v_or_b32_e32 v22, v0, v38
	v_or_b32_e32 v26, v0, v39
	s_waitcnt lgkmcnt(4)
	ds_store_b16 v27, v19
	v_cndmask_b32_e64 v39, 52, 60, s0
	v_or_b32_e32 v35, v0, v35
	s_delay_alu instid0(VALU_DEP_2)
	v_or_b32_e32 v39, v0, v39
	ds_load_u16 v38, v35
	ds_load_u16 v19, v22
	;; [unrolled: 1-line block ×3, first 2 shown]
	s_waitcnt lgkmcnt(4)
	ds_swizzle_b32 v17, v17 offset:swizzle(SWAP,4)
	s_waitcnt lgkmcnt(3)
	ds_swizzle_b32 v38, v38 offset:swizzle(SWAP,4)
	;; [unrolled: 2-line block ×4, first 2 shown]
	s_waitcnt lgkmcnt(3)
	ds_store_b16 v37, v17
	ds_load_u16 v17, v39
	v_cndmask_b32_e64 v37, 34, 38, s1
	s_delay_alu instid0(VALU_DEP_1)
	v_or_b32_e32 v37, v0, v37
	s_waitcnt lgkmcnt(4)
	ds_store_b16 v35, v38
	s_waitcnt lgkmcnt(4)
	ds_store_b16 v22, v19
	v_cndmask_b32_e64 v35, 54, 62, s0
	ds_load_u16 v19, v37
	ds_load_u16 v22, v40
	v_cndmask_b32_e64 v38, 40, 44, s1
	v_or_b32_e32 v35, v0, v35
	s_delay_alu instid0(VALU_DEP_2)
	v_or_b32_e32 v38, v0, v38
	s_waitcnt lgkmcnt(4)
	ds_swizzle_b32 v17, v17 offset:swizzle(SWAP,4)
	s_waitcnt lgkmcnt(2)
	ds_swizzle_b32 v19, v19 offset:swizzle(SWAP,2)
	;; [unrolled: 2-line block ×3, first 2 shown]
	s_waitcnt lgkmcnt(2)
	ds_store_b16 v39, v17
	ds_load_u16 v17, v35
	v_cndmask_b32_e64 v39, 48, 52, s1
	s_delay_alu instid0(VALU_DEP_1)
	v_or_b32_e32 v39, v0, v39
	ds_load_u16 v42, v38
	ds_load_u16 v43, v39
	s_waitcnt lgkmcnt(2)
	ds_swizzle_b32 v17, v17 offset:swizzle(SWAP,4)
	ds_store_b16 v37, v19
	v_cndmask_b32_e64 v37, 56, 60, s1
	ds_load_u16 v19, v41
	v_or_b32_e32 v37, v0, v37
	s_waitcnt lgkmcnt(4)
	ds_swizzle_b32 v42, v42 offset:swizzle(SWAP,2)
	s_waitcnt lgkmcnt(4)
	ds_swizzle_b32 v43, v43 offset:swizzle(SWAP,2)
	s_waitcnt lgkmcnt(4)
	ds_store_b16 v35, v17
	ds_load_u16 v17, v37
	v_cndmask_b32_e64 v35, 42, 46, s1
	s_waitcnt lgkmcnt(3)
	ds_store_b16 v38, v42
	s_waitcnt lgkmcnt(3)
	ds_store_b16 v39, v43
	v_or_b32_e32 v38, v0, v45
	v_cndmask_b32_e64 v45, 58, 62, s1
	v_or_b32_e32 v35, v0, v35
	ds_load_u16 v39, v35
	ds_load_u16 v42, v44
	;; [unrolled: 1-line block ×3, first 2 shown]
	v_or_b32_e32 v45, v0, v45
	ds_swizzle_b32 v19, v19 offset:swizzle(SWAP,1)
	s_waitcnt lgkmcnt(6)
	ds_swizzle_b32 v17, v17 offset:swizzle(SWAP,2)
	s_waitcnt lgkmcnt(4)
	;; [unrolled: 2-line block ×5, first 2 shown]
	ds_store_b16 v37, v17
	ds_load_u16 v17, v45
	v_cndmask_b32_e64 v37, 40, 42, s2
	s_waitcnt lgkmcnt(4)
	ds_store_b16 v35, v39
	s_waitcnt lgkmcnt(4)
	ds_store_b16 v44, v42
	v_or_b32_e32 v37, v0, v37
	ds_load_u16 v35, v37
	ds_load_u16 v39, v46
	;; [unrolled: 1-line block ×4, first 2 shown]
	s_waitcnt lgkmcnt(6)
	ds_swizzle_b32 v17, v17 offset:swizzle(SWAP,2)
	s_waitcnt lgkmcnt(4)
	ds_swizzle_b32 v35, v35 offset:swizzle(SWAP,1)
	;; [unrolled: 2-line block ×5, first 2 shown]
	s_waitcnt lgkmcnt(4)
	ds_store_b16 v45, v17
	ds_load_u16 v17, v49
	ds_load_u16 v45, v50
	ds_store_b16 v36, v28
	ds_store_b16 v26, v27
	;; [unrolled: 1-line block ×5, first 2 shown]
	s_waitcnt lgkmcnt(11)
	ds_store_b16 v37, v35
	ds_store_b16 v23, v18
	s_waitcnt lgkmcnt(12)
	ds_store_b16 v46, v39
	ds_store_b16 v24, v25
	;; [unrolled: 3-line block ×4, first 2 shown]
	ds_store_b16 v32, v30
	s_waitcnt lgkmcnt(15)
	ds_swizzle_b32 v51, v17 offset:swizzle(SWAP,1)
	s_waitcnt lgkmcnt(15)
	ds_swizzle_b32 v45, v45 offset:swizzle(SWAP,1)
	ds_load_b128 v[17:20], v0
	ds_load_b128 v[21:24], v0 offset:16
	s_waitcnt lgkmcnt(3)
	ds_store_b16 v49, v51
	s_waitcnt lgkmcnt(3)
	ds_store_b16 v50, v45
	ds_load_b128 v[25:28], v0 offset:48
	ds_load_b128 v[29:32], v0 offset:32
	s_and_not1_b32 vcc_lo, exec_lo, s3
	s_cbranch_vccz .LBB38_3
	s_branch .LBB38_4
.LBB38_2:
                                        ; implicit-def: $vgpr28
                                        ; implicit-def: $vgpr32
                                        ; implicit-def: $vgpr24
                                        ; implicit-def: $vgpr20
.LBB38_3:
	v_and_b32_e32 v0, 16, v34
	s_waitcnt vmcnt(3)
	scratch_store_b128 off, v[13:16], off
	s_waitcnt vmcnt(2)
	scratch_store_b128 off, v[9:12], off offset:16
	s_waitcnt vmcnt(1)
	scratch_store_b128 off, v[5:8], off offset:32
	s_waitcnt lgkmcnt(5)
	v_lshlrev_b32_e32 v17, 1, v0
	v_cmp_eq_u32_e32 vcc_lo, 0, v0
	s_delay_alu instid0(VALU_DEP_2)
	v_xor_b32_e32 v17, 32, v17
	v_cndmask_b32_e64 v0, 2, 34, vcc_lo
	v_cndmask_b32_e64 v6, 4, 36, vcc_lo
	;; [unrolled: 1-line block ×3, first 2 shown]
	scratch_load_u16 v5, v17, off
	s_waitcnt vmcnt(0)
	ds_swizzle_b32 v5, v5 offset:swizzle(SWAP,16)
	s_waitcnt lgkmcnt(0)
	scratch_store_b16 v17, v5, off
	scratch_load_u16 v5, v0, off
	s_waitcnt vmcnt(0)
	ds_swizzle_b32 v5, v5 offset:swizzle(SWAP,16)
	s_waitcnt lgkmcnt(0)
	scratch_store_b16 v0, v5, off
	scratch_load_u16 v0, v6, off
	v_cndmask_b32_e64 v5, 6, 38, vcc_lo
	s_waitcnt vmcnt(0)
	ds_swizzle_b32 v0, v0 offset:swizzle(SWAP,16)
	s_waitcnt lgkmcnt(0)
	scratch_store_b16 v6, v0, off
	scratch_load_u16 v0, v5, off
	v_cndmask_b32_e64 v6, 8, 40, vcc_lo
	;; [unrolled: 6-line block ×6, first 2 shown]
	s_waitcnt vmcnt(0)
	ds_swizzle_b32 v0, v0 offset:swizzle(SWAP,16)
	scratch_store_b128 off, v[1:4], off offset:48
	s_waitcnt lgkmcnt(0)
	scratch_store_b16 v5, v0, off
	scratch_load_u16 v0, v6, off
	v_cndmask_b32_e64 v1, 18, 50, vcc_lo
	v_and_b32_e32 v2, 8, v34
	v_cndmask_b32_e64 v5, 20, 52, vcc_lo
	s_delay_alu instid0(VALU_DEP_2) | instskip(SKIP_1) | instid1(VALU_DEP_2)
	v_lshlrev_b32_e32 v3, 1, v2
	v_cmp_eq_u32_e64 s0, 0, v2
	v_xor_b32_e32 v3, 16, v3
	s_delay_alu instid0(VALU_DEP_2)
	v_cndmask_b32_e64 v10, 42, 58, s0
	s_waitcnt vmcnt(0)
	ds_swizzle_b32 v0, v0 offset:swizzle(SWAP,16)
	s_waitcnt lgkmcnt(0)
	scratch_store_b16 v6, v0, off
	s_clause 0x1
	scratch_load_u16 v0, v1, off
	scratch_load_u16 v4, v3, off
	v_cndmask_b32_e64 v6, 10, 26, s0
	s_waitcnt vmcnt(1)
	ds_swizzle_b32 v0, v0 offset:swizzle(SWAP,16)
	s_waitcnt vmcnt(0)
	ds_swizzle_b32 v4, v4 offset:swizzle(SWAP,8)
	s_waitcnt lgkmcnt(1)
	scratch_store_b16 v1, v0, off
	scratch_load_u16 v0, v5, off
	v_cndmask_b32_e64 v1, 2, 18, s0
	s_waitcnt vmcnt(0)
	ds_swizzle_b32 v0, v0 offset:swizzle(SWAP,16)
	s_waitcnt lgkmcnt(1)
	scratch_store_b16 v3, v4, off
	scratch_load_u16 v2, v1, off
	v_cndmask_b32_e64 v3, 22, 54, vcc_lo
	v_cndmask_b32_e64 v4, 4, 20, s0
	s_waitcnt lgkmcnt(0)
	scratch_store_b16 v5, v0, off
	scratch_load_u16 v0, v3, off
	v_and_b32_e32 v5, 4, v34
	s_waitcnt vmcnt(1)
	ds_swizzle_b32 v2, v2 offset:swizzle(SWAP,8)
	s_waitcnt vmcnt(0)
	ds_swizzle_b32 v0, v0 offset:swizzle(SWAP,16)
	s_waitcnt lgkmcnt(1)
	scratch_store_b16 v1, v2, off
	scratch_load_u16 v1, v4, off
	v_cndmask_b32_e64 v2, 24, 56, vcc_lo
	s_waitcnt vmcnt(0)
	ds_swizzle_b32 v1, v1 offset:swizzle(SWAP,8)
	s_waitcnt lgkmcnt(1)
	scratch_store_b16 v3, v0, off
	scratch_load_u16 v0, v2, off
	v_cndmask_b32_e64 v3, 6, 22, s0
	s_waitcnt lgkmcnt(0)
	scratch_store_b16 v4, v1, off
	scratch_load_u16 v1, v3, off
	v_cndmask_b32_e64 v4, 26, 58, vcc_lo
	s_waitcnt vmcnt(1)
	ds_swizzle_b32 v0, v0 offset:swizzle(SWAP,16)
	s_waitcnt vmcnt(0)
	ds_swizzle_b32 v1, v1 offset:swizzle(SWAP,8)
	s_waitcnt lgkmcnt(1)
	scratch_store_b16 v2, v0, off
	scratch_load_u16 v0, v4, off
	v_cndmask_b32_e64 v2, 8, 24, s0
	s_waitcnt vmcnt(0)
	ds_swizzle_b32 v0, v0 offset:swizzle(SWAP,16)
	s_waitcnt lgkmcnt(1)
	scratch_store_b16 v3, v1, off
	scratch_load_u16 v1, v2, off
	v_cndmask_b32_e64 v3, 28, 60, vcc_lo
	v_cmp_eq_u32_e32 vcc_lo, 0, v5
	v_cndmask_b32_e64 v18, 50, 58, vcc_lo
	v_cndmask_b32_e64 v22, 52, 60, vcc_lo
	s_waitcnt lgkmcnt(0)
	scratch_store_b16 v4, v0, off
	scratch_load_u16 v0, v3, off
	v_lshlrev_b32_e32 v4, 1, v5
	v_cndmask_b32_e64 v5, 12, 28, s0
	s_delay_alu instid0(VALU_DEP_2) | instskip(NEXT) | instid1(VALU_DEP_1)
	v_xor_b32_e32 v4, 8, v4
	v_or_b32_e32 v4, 0, v4
	s_waitcnt vmcnt(1)
	ds_swizzle_b32 v1, v1 offset:swizzle(SWAP,8)
	s_waitcnt vmcnt(0)
	ds_swizzle_b32 v0, v0 offset:swizzle(SWAP,16)
	s_waitcnt lgkmcnt(1)
	scratch_store_b16 v2, v1, off
	s_clause 0x1
	scratch_load_u16 v1, v6, off
	scratch_load_u16 v2, v4, off
	s_waitcnt vmcnt(1)
	ds_swizzle_b32 v1, v1 offset:swizzle(SWAP,8)
	s_waitcnt vmcnt(0)
	ds_swizzle_b32 v2, v2 offset:swizzle(SWAP,4)
	s_waitcnt lgkmcnt(2)
	scratch_store_b16 v3, v0, off
	scratch_load_u16 v0, v7, off
	v_cndmask_b32_e64 v3, 2, 10, vcc_lo
	s_delay_alu instid0(VALU_DEP_1)
	v_or_b32_e32 v3, 0, v3
	s_waitcnt lgkmcnt(1)
	scratch_store_b16 v6, v1, off
	s_waitcnt lgkmcnt(0)
	scratch_store_b16 v4, v2, off
	s_clause 0x1
	scratch_load_u16 v1, v5, off
	scratch_load_u16 v2, v3, off
	v_cndmask_b32_e64 v4, 32, 48, s0
	v_cndmask_b32_e64 v6, 4, 12, vcc_lo
	s_delay_alu instid0(VALU_DEP_1)
	v_or_b32_e32 v6, 0, v6
	s_waitcnt vmcnt(2)
	ds_swizzle_b32 v0, v0 offset:swizzle(SWAP,16)
	s_waitcnt lgkmcnt(0)
	scratch_store_b16 v7, v0, off
	scratch_load_u16 v0, v4, off
	s_waitcnt vmcnt(2)
	ds_swizzle_b32 v1, v1 offset:swizzle(SWAP,8)
	s_waitcnt vmcnt(1)
	ds_swizzle_b32 v2, v2 offset:swizzle(SWAP,4)
	v_cndmask_b32_e64 v7, 14, 30, s0
	s_waitcnt vmcnt(0)
	ds_swizzle_b32 v0, v0 offset:swizzle(SWAP,8)
	s_waitcnt lgkmcnt(1)
	s_clause 0x1
	scratch_store_b16 v3, v2, off
	scratch_store_b16 v5, v1, off
	s_clause 0x1
	scratch_load_u16 v1, v7, off
	scratch_load_u16 v2, v6, off
	v_cndmask_b32_e64 v3, 34, 50, s0
	s_waitcnt lgkmcnt(0)
	scratch_store_b16 v4, v0, off
	scratch_load_u16 v0, v3, off
	v_cndmask_b32_e64 v4, 6, 14, vcc_lo
	s_delay_alu instid0(VALU_DEP_1)
	v_or_b32_e32 v4, 0, v4
	s_waitcnt vmcnt(2)
	ds_swizzle_b32 v1, v1 offset:swizzle(SWAP,8)
	s_waitcnt vmcnt(1)
	ds_swizzle_b32 v2, v2 offset:swizzle(SWAP,4)
	s_waitcnt lgkmcnt(1)
	scratch_store_b16 v7, v1, off
	s_waitcnt lgkmcnt(0)
	scratch_store_b16 v6, v2, off
	v_and_b32_e32 v1, 2, v34
	scratch_load_u16 v2, v4, off
	s_waitcnt vmcnt(1)
	ds_swizzle_b32 v0, v0 offset:swizzle(SWAP,8)
	v_cndmask_b32_e64 v7, 36, 52, s0
	v_lshlrev_b32_e32 v5, 1, v1
	v_cmp_eq_u32_e64 s1, 0, v1
	s_delay_alu instid0(VALU_DEP_2) | instskip(NEXT) | instid1(VALU_DEP_2)
	v_xor_b32_e32 v5, 4, v5
	v_cndmask_b32_e64 v1, 2, 6, s1
	v_cndmask_b32_e64 v14, 18, 22, s1
	;; [unrolled: 1-line block ×4, first 2 shown]
	v_or_b32_e32 v5, 0, v5
	v_or_b32_e32 v1, 0, v1
	v_cndmask_b32_e64 v23, 34, 38, s1
	scratch_load_u16 v6, v5, off
	s_waitcnt lgkmcnt(0)
	scratch_store_b16 v3, v0, off
	scratch_load_u16 v0, v7, off
	v_cndmask_b32_e64 v3, 16, 24, vcc_lo
	scratch_load_u16 v8, v3, off
	s_waitcnt vmcnt(3)
	ds_swizzle_b32 v2, v2 offset:swizzle(SWAP,4)
	s_waitcnt vmcnt(2)
	ds_swizzle_b32 v6, v6 offset:swizzle(SWAP,2)
	s_waitcnt lgkmcnt(1)
	scratch_store_b16 v4, v2, off
	s_waitcnt lgkmcnt(0)
	scratch_store_b16 v5, v6, off
	s_waitcnt vmcnt(1)
	ds_swizzle_b32 v0, v0 offset:swizzle(SWAP,8)
	s_waitcnt vmcnt(0)
	ds_swizzle_b32 v5, v8 offset:swizzle(SWAP,4)
	v_cndmask_b32_e64 v4, 38, 54, s0
	scratch_load_u16 v2, v1, off
	v_cndmask_b32_e64 v6, 18, 26, vcc_lo
	s_waitcnt lgkmcnt(1)
	scratch_store_b16 v7, v0, off
	s_waitcnt lgkmcnt(0)
	scratch_store_b16 v3, v5, off
	scratch_load_u16 v0, v4, off
	v_cndmask_b32_e64 v5, 8, 12, s1
	scratch_load_u16 v3, v6, off
	v_and_b32_e32 v7, 1, v34
	v_or_b32_e32 v5, 0, v5
	s_delay_alu instid0(VALU_DEP_2)
	v_cmp_eq_u32_e64 s2, 0, v7
	v_lshlrev_b32_e32 v9, 1, v7
	scratch_load_u16 v8, v5, off
	v_cndmask_b32_e64 v7, 4, 6, s2
	v_xor_b32_e32 v9, 2, v9
	v_cndmask_b32_e64 v12, 8, 10, s2
	v_cndmask_b32_e64 v16, 16, 18, s2
	;; [unrolled: 1-line block ×3, first 2 shown]
	v_or_b32_e32 v7, 0, v7
	v_or_b32_e32 v9, 0, v9
	;; [unrolled: 1-line block ×3, first 2 shown]
	v_cndmask_b32_e64 v25, 48, 50, s2
	v_cndmask_b32_e64 v26, 52, 54, s2
	;; [unrolled: 1-line block ×4, first 2 shown]
	s_waitcnt vmcnt(3)
	ds_swizzle_b32 v2, v2 offset:swizzle(SWAP,2)
	s_waitcnt vmcnt(2)
	ds_swizzle_b32 v0, v0 offset:swizzle(SWAP,8)
	s_waitcnt lgkmcnt(1)
	scratch_store_b16 v1, v2, off
	v_cndmask_b32_e64 v2, 40, 56, s0
	s_waitcnt vmcnt(1)
	ds_swizzle_b32 v3, v3 offset:swizzle(SWAP,4)
	scratch_load_u16 v1, v9, off
	s_waitcnt vmcnt(1)
	ds_swizzle_b32 v8, v8 offset:swizzle(SWAP,2)
	s_waitcnt lgkmcnt(2)
	scratch_store_b16 v4, v0, off
	scratch_load_u16 v0, v2, off
	v_cndmask_b32_e64 v4, 20, 28, vcc_lo
	s_waitcnt lgkmcnt(1)
	scratch_store_b16 v6, v3, off
	v_cndmask_b32_e64 v6, 10, 14, s1
	scratch_load_u16 v3, v4, off
	v_or_b32_e32 v6, 0, v6
	s_waitcnt lgkmcnt(0)
	scratch_store_b16 v5, v8, off
	s_clause 0x1
	scratch_load_u16 v8, v7, off
	scratch_load_u16 v5, v6, off
	s_waitcnt vmcnt(3)
	ds_swizzle_b32 v0, v0 offset:swizzle(SWAP,8)
	s_waitcnt vmcnt(2)
	ds_swizzle_b32 v3, v3 offset:swizzle(SWAP,4)
	;; [unrolled: 2-line block ×4, first 2 shown]
	s_waitcnt lgkmcnt(3)
	scratch_store_b16 v2, v0, off
	scratch_load_u16 v0, v10, off
	v_cndmask_b32_e64 v2, 22, 30, vcc_lo
	s_waitcnt lgkmcnt(2)
	scratch_store_b16 v4, v3, off
	v_cndmask_b32_e64 v4, 16, 20, s1
	s_clause 0x1
	scratch_load_u16 v3, v2, off
	scratch_load_u16 v11, v4, off
	s_waitcnt lgkmcnt(0)
	scratch_store_b16 v6, v5, off
	scratch_load_u16 v5, v12, off
	v_cndmask_b32_e64 v6, 44, 60, s0
	s_waitcnt vmcnt(3)
	ds_swizzle_b32 v0, v0 offset:swizzle(SWAP,8)
	s_waitcnt vmcnt(0)
	ds_swizzle_b32 v5, v5 offset:swizzle(SWAP,1)
	s_waitcnt lgkmcnt(1)
	scratch_store_b16 v10, v0, off
	scratch_load_u16 v0, v6, off
	v_cndmask_b32_e64 v10, 32, 40, vcc_lo
	ds_swizzle_b32 v3, v3 offset:swizzle(SWAP,4)
	ds_swizzle_b32 v11, v11 offset:swizzle(SWAP,2)
	ds_swizzle_b32 v1, v1 offset:swizzle(SWAP,1)
	scratch_load_u16 v13, v10, off
	s_waitcnt lgkmcnt(2)
	scratch_store_b16 v2, v3, off
	s_waitcnt lgkmcnt(1)
	scratch_store_b16 v4, v11, off
	v_cndmask_b32_e64 v3, 12, 14, s2
	scratch_load_u16 v2, v14, off
	v_or_b32_e32 v3, 0, v3
	scratch_load_u16 v4, v3, off
	s_waitcnt vmcnt(3)
	ds_swizzle_b32 v0, v0 offset:swizzle(SWAP,8)
	s_waitcnt vmcnt(2)
	ds_swizzle_b32 v11, v13 offset:swizzle(SWAP,4)
	v_cndmask_b32_e64 v13, 46, 62, s0
	s_waitcnt lgkmcnt(1)
	scratch_store_b16 v6, v0, off
	v_cndmask_b32_e64 v6, 34, 42, vcc_lo
	scratch_load_u16 v0, v13, off
	s_waitcnt vmcnt(2)
	ds_swizzle_b32 v2, v2 offset:swizzle(SWAP,2)
	s_waitcnt lgkmcnt(1)
	scratch_store_b16 v10, v11, off
	v_cndmask_b32_e64 v10, 24, 28, s1
	s_clause 0x1
	scratch_load_u16 v11, v6, off
	scratch_load_u16 v15, v10, off
	s_waitcnt vmcnt(3)
	ds_swizzle_b32 v4, v4 offset:swizzle(SWAP,1)
	s_waitcnt vmcnt(2)
	ds_swizzle_b32 v0, v0 offset:swizzle(SWAP,8)
	;; [unrolled: 2-line block ×4, first 2 shown]
	s_waitcnt lgkmcnt(1)
	scratch_store_b16 v6, v11, off
	s_waitcnt lgkmcnt(0)
	s_clause 0x2
	scratch_store_b16 v10, v15, off
	scratch_store_b16 v14, v2, off
	;; [unrolled: 1-line block ×3, first 2 shown]
	v_cndmask_b32_e64 v14, 48, 56, vcc_lo
	v_cndmask_b32_e64 v13, 36, 44, vcc_lo
	s_clause 0x1
	scratch_load_u16 v2, v16, off
	scratch_load_u16 v10, v17, off
	v_cndmask_b32_e64 v11, 20, 22, s2
	s_clause 0x2
	scratch_load_u16 v0, v14, off
	scratch_load_u16 v6, v13, off
	;; [unrolled: 1-line block ×3, first 2 shown]
	s_waitcnt vmcnt(4)
	ds_swizzle_b32 v2, v2 offset:swizzle(SWAP,1)
	s_waitcnt vmcnt(3)
	ds_swizzle_b32 v10, v10 offset:swizzle(SWAP,2)
	;; [unrolled: 2-line block ×5, first 2 shown]
	s_waitcnt lgkmcnt(2)
	scratch_store_b16 v14, v0, off
	s_waitcnt lgkmcnt(1)
	scratch_store_b16 v13, v6, off
	v_cndmask_b32_e64 v14, 38, 46, vcc_lo
	s_clause 0x2
	scratch_load_u16 v0, v18, off
	scratch_load_u16 v6, v14, off
	;; [unrolled: 1-line block ×3, first 2 shown]
	s_waitcnt vmcnt(2)
	ds_swizzle_b32 v0, v0 offset:swizzle(SWAP,4)
	s_waitcnt vmcnt(1)
	ds_swizzle_b32 v6, v6 offset:swizzle(SWAP,4)
	scratch_store_b16 v17, v10, off
	scratch_load_u16 v10, v21, off
	s_waitcnt vmcnt(1)
	ds_swizzle_b32 v13, v13 offset:swizzle(SWAP,2)
	s_waitcnt lgkmcnt(2)
	scratch_store_b16 v18, v0, off
	scratch_load_u16 v0, v22, off
	s_waitcnt lgkmcnt(1)
	scratch_store_b16 v14, v6, off
	s_waitcnt lgkmcnt(0)
	scratch_store_b16 v19, v13, off
	v_cndmask_b32_e64 v13, 28, 30, s2
	scratch_load_u16 v14, v13, off
	s_waitcnt vmcnt(2)
	ds_swizzle_b32 v6, v10 offset:swizzle(SWAP,1)
	scratch_load_u16 v10, v23, off
	s_clause 0x3
	scratch_store_b16 v9, v1, off
	scratch_store_b16 v7, v8, off
	;; [unrolled: 1-line block ×4, first 2 shown]
	v_cndmask_b32_e64 v1, 54, 62, vcc_lo
	v_cndmask_b32_e64 v4, 40, 44, s1
	v_cndmask_b32_e64 v7, 48, 52, s1
	;; [unrolled: 1-line block ×4, first 2 shown]
	scratch_load_b128 v[17:20], off, off
	scratch_load_u16 v5, v4, off
	s_waitcnt vmcnt(4)
	ds_swizzle_b32 v0, v0 offset:swizzle(SWAP,4)
	s_waitcnt vmcnt(2)
	ds_swizzle_b32 v3, v10 offset:swizzle(SWAP,2)
	s_waitcnt lgkmcnt(1)
	scratch_store_b16 v22, v0, off
	s_clause 0x1
	scratch_load_u16 v0, v1, off
	scratch_load_u16 v8, v7, off
	ds_swizzle_b32 v10, v14 offset:swizzle(SWAP,1)
	v_cndmask_b32_e64 v14, 36, 38, s2
	v_cndmask_b32_e64 v22, 50, 54, s1
	s_waitcnt lgkmcnt(1)
	scratch_store_b16 v23, v3, off
	scratch_load_u16 v3, v9, off
	s_waitcnt vmcnt(3)
	ds_swizzle_b32 v5, v5 offset:swizzle(SWAP,2)
	s_waitcnt lgkmcnt(0)
	scratch_store_b16 v4, v5, off
	s_waitcnt vmcnt(2)
	ds_swizzle_b32 v0, v0 offset:swizzle(SWAP,4)
	s_waitcnt vmcnt(1)
	ds_swizzle_b32 v8, v8 offset:swizzle(SWAP,2)
	;; [unrolled: 2-line block ×3, first 2 shown]
	s_waitcnt lgkmcnt(2)
	scratch_store_b16 v1, v0, off
	scratch_load_u16 v0, v12, off
	v_cndmask_b32_e64 v1, 42, 46, s1
	s_clause 0x1
	scratch_load_u16 v4, v1, off
	scratch_load_u16 v5, v14, off
	s_waitcnt vmcnt(2)
	ds_swizzle_b32 v0, v0 offset:swizzle(SWAP,2)
	s_waitcnt vmcnt(1)
	ds_swizzle_b32 v4, v4 offset:swizzle(SWAP,2)
	s_waitcnt lgkmcnt(3)
	scratch_store_b16 v7, v8, off
	v_cndmask_b32_e64 v8, 58, 62, s1
	scratch_load_u16 v7, v22, off
	s_waitcnt vmcnt(1)
	ds_swizzle_b32 v5, v5 offset:swizzle(SWAP,1)
	s_waitcnt lgkmcnt(2)
	scratch_store_b16 v12, v0, off
	scratch_load_u16 v0, v8, off
	v_cndmask_b32_e64 v12, 40, 42, s2
	s_waitcnt lgkmcnt(1)
	scratch_store_b16 v1, v4, off
	v_cndmask_b32_e64 v4, 44, 46, s2
	scratch_load_u16 v1, v12, off
	s_waitcnt vmcnt(2)
	ds_swizzle_b32 v7, v7 offset:swizzle(SWAP,2)
	s_waitcnt vmcnt(1)
	ds_swizzle_b32 v0, v0 offset:swizzle(SWAP,2)
	;; [unrolled: 2-line block ×3, first 2 shown]
	s_waitcnt lgkmcnt(2)
	scratch_store_b16 v22, v7, off
	s_clause 0x2
	scratch_load_u16 v7, v4, off
	scratch_load_u16 v22, v25, off
	;; [unrolled: 1-line block ×3, first 2 shown]
	s_waitcnt lgkmcnt(1)
	scratch_store_b16 v8, v0, off
	s_clause 0x1
	scratch_load_u16 v0, v27, off
	scratch_load_u16 v8, v28, off
	s_clause 0x3
	scratch_store_b16 v13, v10, off
	scratch_store_b16 v16, v2, off
	;; [unrolled: 1-line block ×4, first 2 shown]
	s_waitcnt vmcnt(4)
	ds_swizzle_b32 v7, v7 offset:swizzle(SWAP,1)
	s_waitcnt vmcnt(3)
	ds_swizzle_b32 v2, v22 offset:swizzle(SWAP,1)
	;; [unrolled: 2-line block ×3, first 2 shown]
	scratch_load_b128 v[21:24], off, off offset:16
	s_waitcnt vmcnt(2)
	ds_swizzle_b32 v0, v0 offset:swizzle(SWAP,1)
	s_waitcnt vmcnt(1)
	ds_swizzle_b32 v6, v8 offset:swizzle(SWAP,1)
	s_waitcnt lgkmcnt(5)
	scratch_store_b16 v12, v1, off
	s_waitcnt lgkmcnt(4)
	scratch_store_b16 v4, v7, off
	;; [unrolled: 2-line block ×3, first 2 shown]
	s_waitcnt lgkmcnt(2)
	s_clause 0x1
	scratch_store_b16 v26, v10, off
	scratch_store_b16 v9, v3, off
	s_waitcnt lgkmcnt(1)
	s_clause 0x1
	scratch_store_b16 v27, v0, off
	scratch_store_b16 v14, v5, off
	s_waitcnt lgkmcnt(0)
	scratch_store_b16 v28, v6, off
	s_clause 0x1
	scratch_load_b128 v[29:32], off, off offset:32
	scratch_load_b128 v[25:28], off, off offset:48
.LBB38_4:
	v_lshlrev_b32_e32 v0, 1, v33
	s_waitcnt lgkmcnt(5)
	global_store_b128 v0, v[17:20], s[6:7]
	s_waitcnt vmcnt(2) lgkmcnt(4)
	global_store_b128 v0, v[21:24], s[6:7] offset:16
	s_waitcnt vmcnt(1) lgkmcnt(0)
	global_store_b128 v0, v[29:32], s[6:7] offset:32
	s_waitcnt vmcnt(0)
	global_store_b128 v0, v[25:28], s[6:7] offset:48
	s_endpgm
	.section	.rodata,"a",@progbits
	.p2align	6, 0x0
	.amdhsa_kernel _Z20warp_exchange_kernelILj32ELj32EN6common25BlockedToStripedShuffleOpEsEvPT2_S3_b
		.amdhsa_group_segment_fixed_size 65536
		.amdhsa_private_segment_fixed_size 80
		.amdhsa_kernarg_size 20
		.amdhsa_user_sgpr_count 15
		.amdhsa_user_sgpr_dispatch_ptr 1
		.amdhsa_user_sgpr_queue_ptr 0
		.amdhsa_user_sgpr_kernarg_segment_ptr 1
		.amdhsa_user_sgpr_dispatch_id 0
		.amdhsa_user_sgpr_private_segment_size 0
		.amdhsa_wavefront_size32 1
		.amdhsa_uses_dynamic_stack 0
		.amdhsa_enable_private_segment 1
		.amdhsa_system_sgpr_workgroup_id_x 1
		.amdhsa_system_sgpr_workgroup_id_y 0
		.amdhsa_system_sgpr_workgroup_id_z 0
		.amdhsa_system_sgpr_workgroup_info 0
		.amdhsa_system_vgpr_workitem_id 2
		.amdhsa_next_free_vgpr 52
		.amdhsa_next_free_sgpr 8
		.amdhsa_reserve_vcc 1
		.amdhsa_float_round_mode_32 0
		.amdhsa_float_round_mode_16_64 0
		.amdhsa_float_denorm_mode_32 3
		.amdhsa_float_denorm_mode_16_64 3
		.amdhsa_dx10_clamp 1
		.amdhsa_ieee_mode 1
		.amdhsa_fp16_overflow 0
		.amdhsa_workgroup_processor_mode 1
		.amdhsa_memory_ordered 1
		.amdhsa_forward_progress 0
		.amdhsa_shared_vgpr_count 0
		.amdhsa_exception_fp_ieee_invalid_op 0
		.amdhsa_exception_fp_denorm_src 0
		.amdhsa_exception_fp_ieee_div_zero 0
		.amdhsa_exception_fp_ieee_overflow 0
		.amdhsa_exception_fp_ieee_underflow 0
		.amdhsa_exception_fp_ieee_inexact 0
		.amdhsa_exception_int_div_zero 0
	.end_amdhsa_kernel
	.section	.text._Z20warp_exchange_kernelILj32ELj32EN6common25BlockedToStripedShuffleOpEsEvPT2_S3_b,"axG",@progbits,_Z20warp_exchange_kernelILj32ELj32EN6common25BlockedToStripedShuffleOpEsEvPT2_S3_b,comdat
.Lfunc_end38:
	.size	_Z20warp_exchange_kernelILj32ELj32EN6common25BlockedToStripedShuffleOpEsEvPT2_S3_b, .Lfunc_end38-_Z20warp_exchange_kernelILj32ELj32EN6common25BlockedToStripedShuffleOpEsEvPT2_S3_b
                                        ; -- End function
	.section	.AMDGPU.csdata,"",@progbits
; Kernel info:
; codeLenInByte = 7356
; NumSgprs: 10
; NumVgprs: 52
; ScratchSize: 80
; MemoryBound: 0
; FloatMode: 240
; IeeeMode: 1
; LDSByteSize: 65536 bytes/workgroup (compile time only)
; SGPRBlocks: 1
; VGPRBlocks: 6
; NumSGPRsForWavesPerEU: 10
; NumVGPRsForWavesPerEU: 52
; Occupancy: 16
; WaveLimiterHint : 0
; COMPUTE_PGM_RSRC2:SCRATCH_EN: 1
; COMPUTE_PGM_RSRC2:USER_SGPR: 15
; COMPUTE_PGM_RSRC2:TRAP_HANDLER: 0
; COMPUTE_PGM_RSRC2:TGID_X_EN: 1
; COMPUTE_PGM_RSRC2:TGID_Y_EN: 0
; COMPUTE_PGM_RSRC2:TGID_Z_EN: 0
; COMPUTE_PGM_RSRC2:TIDIG_COMP_CNT: 2
	.section	.text._Z20warp_exchange_kernelILj16ELj16EN6common25BlockedToStripedShuffleOpEaEvPT2_S3_b,"axG",@progbits,_Z20warp_exchange_kernelILj16ELj16EN6common25BlockedToStripedShuffleOpEaEvPT2_S3_b,comdat
	.protected	_Z20warp_exchange_kernelILj16ELj16EN6common25BlockedToStripedShuffleOpEaEvPT2_S3_b ; -- Begin function _Z20warp_exchange_kernelILj16ELj16EN6common25BlockedToStripedShuffleOpEaEvPT2_S3_b
	.globl	_Z20warp_exchange_kernelILj16ELj16EN6common25BlockedToStripedShuffleOpEaEvPT2_S3_b
	.p2align	8
	.type	_Z20warp_exchange_kernelILj16ELj16EN6common25BlockedToStripedShuffleOpEaEvPT2_S3_b,@function
_Z20warp_exchange_kernelILj16ELj16EN6common25BlockedToStripedShuffleOpEaEvPT2_S3_b: ; @_Z20warp_exchange_kernelILj16ELj16EN6common25BlockedToStripedShuffleOpEaEvPT2_S3_b
; %bb.0:
	s_clause 0x1
	s_load_b128 s[96:99], s[0:1], 0x0
	s_load_b32 s82, s[0:1], 0x10
	v_lshlrev_b32_e32 v8, 4, v0
	v_mbcnt_lo_u32_b32 v9, -1, 0
	s_delay_alu instid0(VALU_DEP_1) | instskip(SKIP_1) | instid1(VALU_DEP_2)
	v_and_b32_e32 v4, 8, v9
	v_and_b32_e32 v10, 4, v9
	v_cmp_eq_u32_e32 vcc_lo, 0, v4
	v_xor_b32_e32 v4, 8, v4
	s_delay_alu instid0(VALU_DEP_3) | instskip(SKIP_1) | instid1(VALU_DEP_3)
	v_cmp_ne_u32_e64 s0, 0, v10
	v_cndmask_b32_e64 v5, 1, 9, vcc_lo
	v_cmp_eq_u32_e64 s68, 1, v4
	s_waitcnt lgkmcnt(0)
	global_load_b128 v[0:3], v8, s[96:97]
	v_cmp_eq_u32_e64 s67, 2, v4
	v_cmp_eq_u32_e64 s69, 3, v4
	;; [unrolled: 1-line block ×24, first 2 shown]
	v_cndmask_b32_e64 v6, 2, 10, vcc_lo
	v_cmp_eq_u32_e64 s76, 10, v4
	v_cmp_eq_u32_e64 s77, 11, v4
	;; [unrolled: 1-line block ×22, first 2 shown]
	v_cndmask_b32_e64 v7, 3, 11, vcc_lo
	v_cndmask_b32_e64 v24, 4, 12, vcc_lo
	v_cmp_eq_u32_e64 s66, 0, v4
	v_cndmask_b32_e64 v13, 5, 13, vcc_lo
	v_cndmask_b32_e64 v12, 6, 14, vcc_lo
	;; [unrolled: 1-line block ×3, first 2 shown]
	v_cmp_eq_u32_e64 s27, 1, v7
	v_cmp_eq_u32_e64 s30, 2, v7
	;; [unrolled: 1-line block ×32, first 2 shown]
	s_bitcmp0_b32 s82, 0
	s_mov_b32 s82, -1
	s_waitcnt vmcnt(0)
	v_lshrrev_b32_e32 v15, 8, v0
	v_lshrrev_b32_e32 v14, 16, v0
	;; [unrolled: 1-line block ×5, first 2 shown]
	v_cndmask_b32_e64 v5, v0, v15, s68
	v_lshrrev_b32_e32 v19, 8, v2
	v_lshrrev_b32_e32 v20, 16, v2
	;; [unrolled: 1-line block ×4, first 2 shown]
	v_cndmask_b32_e64 v5, v5, v14, s67
	v_lshrrev_b32_e32 v22, 16, v3
	v_lshrrev_b32_e32 v23, 24, v3
	s_delay_alu instid0(VALU_DEP_3) | instskip(SKIP_1) | instid1(VALU_DEP_2)
	v_cndmask_b32_e64 v5, v5, v16, s69
	v_lshrrev_b32_e32 v16, 8, v1
	v_cndmask_b32_e64 v5, v5, v1, s70
	s_delay_alu instid0(VALU_DEP_1) | instskip(NEXT) | instid1(VALU_DEP_1)
	v_cndmask_b32_e64 v5, v5, v16, s71
	v_cndmask_b32_e64 v5, v5, v17, s72
	s_delay_alu instid0(VALU_DEP_1) | instskip(NEXT) | instid1(VALU_DEP_1)
	v_cndmask_b32_e64 v5, v5, v18, s73
	;; [unrolled: 3-line block ×6, first 2 shown]
	v_and_b32_e32 v24, 0xff, v4
	s_cbranch_scc0 .LBB39_2
; %bb.1:
	ds_swizzle_b32 v6, v24 offset:swizzle(SWAP,8)
	v_lshrrev_b64 v[4:5], 24, v[0:1]
	v_cmp_eq_u32_e32 vcc_lo, 1, v13
	v_cmp_eq_u32_e64 s82, 2, v13
	v_cmp_eq_u32_e64 s83, 3, v13
	;; [unrolled: 1-line block ×14, first 2 shown]
	s_waitcnt lgkmcnt(0)
	v_cndmask_b32_e64 v7, v15, v6, s68
	v_cndmask_b32_e64 v25, v0, v6, s66
	;; [unrolled: 1-line block ×15, first 2 shown]
	s_delay_alu instid0(VALU_DEP_4) | instskip(NEXT) | instid1(VALU_DEP_1)
	v_cndmask_b32_e64 v4, v4, v27, s33
	v_cndmask_b32_e64 v4, v4, v28, s29
	s_delay_alu instid0(VALU_DEP_1) | instskip(NEXT) | instid1(VALU_DEP_1)
	v_cndmask_b32_e64 v4, v4, v29, s26
	v_cndmask_b32_e64 v4, v4, v30, s25
	s_delay_alu instid0(VALU_DEP_1) | instskip(NEXT) | instid1(VALU_DEP_1)
	v_cndmask_b32_e64 v4, v4, v31, s24
	v_cndmask_b32_e64 v34, v4, v32, s23
	v_lshrrev_b64 v[4:5], 24, v[2:3]
	v_cndmask_b32_e64 v5, v20, v6, s76
	s_delay_alu instid0(VALU_DEP_3) | instskip(NEXT) | instid1(VALU_DEP_3)
	v_cndmask_b32_e64 v34, v34, v33, s22
	v_cndmask_b32_e64 v4, v4, v6, s77
	;; [unrolled: 1-line block ×3, first 2 shown]
	s_delay_alu instid0(VALU_DEP_3) | instskip(NEXT) | instid1(VALU_DEP_1)
	v_cndmask_b32_e64 v34, v34, v5, s21
	v_cndmask_b32_e64 v34, v34, v4, s20
	s_delay_alu instid0(VALU_DEP_1) | instskip(NEXT) | instid1(VALU_DEP_1)
	v_cndmask_b32_e64 v34, v34, v35, s19
	v_cndmask_b32_e64 v34, v34, v36, s18
	s_delay_alu instid0(VALU_DEP_1) | instskip(NEXT) | instid1(VALU_DEP_1)
	v_cndmask_b32_e64 v34, v34, v37, s16
	v_cndmask_b32_e64 v34, v34, v6, s14
	s_delay_alu instid0(VALU_DEP_1)
	v_and_b32_e32 v34, 0xff, v34
	ds_swizzle_b32 v34, v34 offset:swizzle(SWAP,8)
	s_waitcnt lgkmcnt(0)
	v_cndmask_b32_e64 v7, v7, v34, s43
	v_cndmask_b32_e64 v25, v25, v34, s55
	v_cndmask_b32_e64 v26, v26, v34, s38
	v_cndmask_b32_e64 v27, v27, v34, s33
	v_cndmask_b32_e64 v28, v28, v34, s29
	v_cndmask_b32_e64 v29, v29, v34, s26
	v_cndmask_b32_e64 v38, v25, v7, s63
	v_cndmask_b32_e64 v30, v30, v34, s25
	v_cndmask_b32_e64 v31, v31, v34, s24
	v_cndmask_b32_e64 v32, v32, v34, s23
	v_cndmask_b32_e64 v33, v33, v34, s22
	v_cndmask_b32_e64 v38, v38, v26, s62
	v_cndmask_b32_e64 v5, v5, v34, s21
	v_cndmask_b32_e64 v4, v4, v34, s20
	v_cndmask_b32_e64 v35, v35, v34, s19
	v_cndmask_b32_e64 v36, v36, v34, s18
	v_cndmask_b32_e64 v38, v38, v27, s61
	v_cndmask_b32_e64 v37, v37, v34, s16
	v_cndmask_b32_e64 v6, v6, v34, s14
	s_delay_alu instid0(VALU_DEP_3) | instskip(NEXT) | instid1(VALU_DEP_1)
	v_cndmask_b32_e64 v38, v38, v28, s60
	v_cndmask_b32_e64 v38, v38, v29, s59
	s_delay_alu instid0(VALU_DEP_1) | instskip(NEXT) | instid1(VALU_DEP_1)
	v_cndmask_b32_e64 v38, v38, v30, s58
	v_cndmask_b32_e64 v38, v38, v31, s56
	s_delay_alu instid0(VALU_DEP_1) | instskip(NEXT) | instid1(VALU_DEP_1)
	v_cndmask_b32_e64 v38, v38, v32, s53
	v_cndmask_b32_e64 v38, v38, v33, s51
	s_delay_alu instid0(VALU_DEP_1) | instskip(NEXT) | instid1(VALU_DEP_1)
	v_cndmask_b32_e64 v38, v38, v5, s48
	v_cndmask_b32_e64 v38, v38, v4, s49
	s_delay_alu instid0(VALU_DEP_1) | instskip(NEXT) | instid1(VALU_DEP_1)
	v_cndmask_b32_e64 v38, v38, v35, s47
	v_cndmask_b32_e64 v38, v38, v36, s52
	s_delay_alu instid0(VALU_DEP_1) | instskip(NEXT) | instid1(VALU_DEP_1)
	v_cndmask_b32_e64 v34, v38, v37, s50
	v_cndmask_b32_e64 v34, v34, v6, s54
	s_delay_alu instid0(VALU_DEP_1)
	v_and_b32_e32 v34, 0xff, v34
	ds_swizzle_b32 v34, v34 offset:swizzle(SWAP,8)
	s_waitcnt lgkmcnt(0)
	v_cndmask_b32_e64 v7, v7, v34, s63
	v_cndmask_b32_e64 v25, v25, v34, s65
	v_cndmask_b32_e64 v26, v26, v34, s62
	v_cndmask_b32_e64 v27, v27, v34, s61
	v_cndmask_b32_e64 v28, v28, v34, s60
	v_cndmask_b32_e64 v29, v29, v34, s59
	v_cndmask_b32_e64 v38, v25, v7, s27
	v_cndmask_b32_e64 v30, v30, v34, s58
	v_cndmask_b32_e64 v31, v31, v34, s56
	v_cndmask_b32_e64 v32, v32, v34, s53
	v_cndmask_b32_e64 v33, v33, v34, s51
	v_cndmask_b32_e64 v38, v38, v26, s30
	v_cndmask_b32_e64 v5, v5, v34, s48
	v_cndmask_b32_e64 v4, v4, v34, s49
	v_cndmask_b32_e64 v35, v35, v34, s47
	v_cndmask_b32_e64 v36, v36, v34, s52
	v_cndmask_b32_e64 v38, v38, v27, s28
	v_cndmask_b32_e64 v37, v37, v34, s50
	v_cndmask_b32_e64 v6, v6, v34, s54
	s_delay_alu instid0(VALU_DEP_3) | instskip(NEXT) | instid1(VALU_DEP_1)
	v_cndmask_b32_e64 v38, v38, v28, s34
	v_cndmask_b32_e64 v38, v38, v29, s31
	s_delay_alu instid0(VALU_DEP_1) | instskip(NEXT) | instid1(VALU_DEP_1)
	v_cndmask_b32_e64 v38, v38, v30, s39
	v_cndmask_b32_e64 v38, v38, v31, s35
	s_delay_alu instid0(VALU_DEP_1) | instskip(NEXT) | instid1(VALU_DEP_1)
	v_cndmask_b32_e64 v38, v38, v32, s44
	v_cndmask_b32_e64 v38, v38, v33, s40
	s_delay_alu instid0(VALU_DEP_1) | instskip(NEXT) | instid1(VALU_DEP_1)
	;; [unrolled: 41-line block ×3, first 2 shown]
	v_cndmask_b32_e64 v38, v38, v5, s8
	v_cndmask_b32_e64 v38, v38, v4, s5
	s_delay_alu instid0(VALU_DEP_1) | instskip(NEXT) | instid1(VALU_DEP_1)
	v_cndmask_b32_e64 v38, v38, v35, s3
	v_cndmask_b32_e64 v38, v38, v36, s4
	s_delay_alu instid0(VALU_DEP_1) | instskip(NEXT) | instid1(VALU_DEP_1)
	v_cndmask_b32_e64 v34, v38, v37, s2
	v_cndmask_b32_e64 v34, v34, v6, s1
	s_delay_alu instid0(VALU_DEP_1)
	v_and_b32_e32 v34, 0xff, v34
	ds_swizzle_b32 v34, v34 offset:swizzle(SWAP,8)
	s_waitcnt lgkmcnt(0)
	v_cndmask_b32_e64 v7, v7, v34, s17
	v_cndmask_b32_e64 v25, v25, v34, s57
	;; [unrolled: 1-line block ×6, first 2 shown]
	v_cndmask_b32_e32 v38, v25, v7, vcc_lo
	v_cndmask_b32_e64 v30, v30, v34, s11
	v_cndmask_b32_e64 v31, v31, v34, s7
	;; [unrolled: 1-line block ×12, first 2 shown]
	s_delay_alu instid0(VALU_DEP_3) | instskip(NEXT) | instid1(VALU_DEP_1)
	v_cndmask_b32_e64 v38, v38, v28, s84
	v_cndmask_b32_e64 v38, v38, v29, s85
	s_delay_alu instid0(VALU_DEP_1) | instskip(NEXT) | instid1(VALU_DEP_1)
	v_cndmask_b32_e64 v38, v38, v30, s86
	v_cndmask_b32_e64 v38, v38, v31, s87
	s_delay_alu instid0(VALU_DEP_1) | instskip(NEXT) | instid1(VALU_DEP_1)
	;; [unrolled: 3-line block ×5, first 2 shown]
	v_cndmask_b32_e64 v34, v38, v37, s94
	v_cndmask_b32_e64 v34, v34, v6, s95
	s_delay_alu instid0(VALU_DEP_1)
	v_and_b32_e32 v34, 0xff, v34
	ds_swizzle_b32 v34, v34 offset:swizzle(SWAP,8)
	s_waitcnt lgkmcnt(0)
	v_cndmask_b32_e32 v7, v7, v34, vcc_lo
	v_cmp_eq_u32_e32 vcc_lo, 0, v13
	v_cndmask_b32_e64 v26, v26, v34, s82
	v_cmp_eq_u32_e64 s82, 2, v12
	v_cndmask_b32_e64 v27, v27, v34, s83
	v_cmp_eq_u32_e64 s83, 3, v12
	v_cndmask_b32_e32 v25, v25, v34, vcc_lo
	v_cmp_eq_u32_e32 vcc_lo, 1, v12
	v_cndmask_b32_e64 v28, v28, v34, s84
	v_cmp_eq_u32_e64 s84, 4, v12
	v_cndmask_b32_e64 v29, v29, v34, s85
	v_cmp_eq_u32_e64 s85, 5, v12
	v_cndmask_b32_e32 v38, v25, v7, vcc_lo
	v_cndmask_b32_e64 v30, v30, v34, s86
	v_cmp_eq_u32_e64 s86, 6, v12
	v_cndmask_b32_e64 v31, v31, v34, s87
	v_cmp_eq_u32_e64 s87, 7, v12
	v_cndmask_b32_e64 v38, v38, v26, s82
	v_cndmask_b32_e64 v32, v32, v34, s88
	v_cmp_eq_u32_e64 s88, 8, v12
	v_cndmask_b32_e64 v33, v33, v34, s89
	v_cmp_eq_u32_e64 s89, 9, v12
	v_cndmask_b32_e64 v38, v38, v27, s83
	;; [unrolled: 5-line block ×5, first 2 shown]
	s_delay_alu instid0(VALU_DEP_1) | instskip(NEXT) | instid1(VALU_DEP_1)
	v_cndmask_b32_e64 v38, v38, v31, s87
	v_cndmask_b32_e64 v38, v38, v32, s88
	s_delay_alu instid0(VALU_DEP_1) | instskip(NEXT) | instid1(VALU_DEP_1)
	v_cndmask_b32_e64 v38, v38, v33, s89
	v_cndmask_b32_e64 v38, v38, v5, s90
	;; [unrolled: 3-line block ×4, first 2 shown]
	s_delay_alu instid0(VALU_DEP_1) | instskip(NEXT) | instid1(VALU_DEP_1)
	v_cndmask_b32_e64 v34, v34, v6, s95
	v_and_b32_e32 v34, 0xff, v34
	ds_swizzle_b32 v34, v34 offset:swizzle(SWAP,8)
	s_waitcnt lgkmcnt(0)
	v_cndmask_b32_e32 v7, v7, v34, vcc_lo
	v_cmp_eq_u32_e32 vcc_lo, 0, v12
	v_cndmask_b32_e64 v26, v26, v34, s82
	v_cmp_eq_u32_e64 s82, 2, v11
	v_cndmask_b32_e64 v27, v27, v34, s83
	v_cmp_eq_u32_e64 s83, 3, v11
	v_cndmask_b32_e32 v25, v25, v34, vcc_lo
	v_cmp_eq_u32_e32 vcc_lo, 1, v11
	v_cndmask_b32_e64 v28, v28, v34, s84
	v_cmp_eq_u32_e64 s84, 4, v11
	v_cndmask_b32_e64 v29, v29, v34, s85
	v_cmp_eq_u32_e64 s85, 5, v11
	v_cndmask_b32_e32 v38, v25, v7, vcc_lo
	v_cndmask_b32_e64 v30, v30, v34, s86
	v_cmp_eq_u32_e64 s86, 6, v11
	v_cndmask_b32_e64 v31, v31, v34, s87
	v_cmp_eq_u32_e64 s87, 7, v11
	v_cndmask_b32_e64 v38, v38, v26, s82
	v_cndmask_b32_e64 v32, v32, v34, s88
	v_cmp_eq_u32_e64 s88, 8, v11
	v_cndmask_b32_e64 v33, v33, v34, s89
	v_cmp_eq_u32_e64 s89, 9, v11
	v_cndmask_b32_e64 v38, v38, v27, s83
	;; [unrolled: 5-line block ×5, first 2 shown]
	s_delay_alu instid0(VALU_DEP_1) | instskip(NEXT) | instid1(VALU_DEP_1)
	v_cndmask_b32_e64 v38, v38, v31, s87
	v_cndmask_b32_e64 v38, v38, v32, s88
	s_delay_alu instid0(VALU_DEP_1) | instskip(NEXT) | instid1(VALU_DEP_1)
	v_cndmask_b32_e64 v38, v38, v33, s89
	v_cndmask_b32_e64 v38, v38, v5, s90
	;; [unrolled: 3-line block ×4, first 2 shown]
	v_xor_b32_e32 v38, 4, v10
	s_delay_alu instid0(VALU_DEP_2) | instskip(NEXT) | instid1(VALU_DEP_1)
	v_cndmask_b32_e64 v34, v34, v6, s95
	v_and_b32_e32 v34, 0xff, v34
	ds_swizzle_b32 v34, v34 offset:swizzle(SWAP,8)
	s_waitcnt lgkmcnt(0)
	v_cndmask_b32_e32 v7, v7, v34, vcc_lo
	v_cmp_eq_u32_e32 vcc_lo, 0, v11
	v_cndmask_b32_e64 v26, v26, v34, s82
	v_cmp_eq_u32_e64 s82, 2, v38
	v_cndmask_b32_e64 v27, v27, v34, s83
	v_cmp_eq_u32_e64 s83, 3, v38
	v_cndmask_b32_e32 v25, v25, v34, vcc_lo
	v_cmp_eq_u32_e32 vcc_lo, 1, v38
	v_cndmask_b32_e64 v28, v28, v34, s84
	v_cmp_eq_u32_e64 s84, 4, v38
	v_cndmask_b32_e64 v29, v29, v34, s85
	v_cmp_eq_u32_e64 s85, 5, v38
	v_cndmask_b32_e32 v39, v25, v7, vcc_lo
	v_cndmask_b32_e64 v30, v30, v34, s86
	v_cmp_eq_u32_e64 s86, 6, v38
	v_cndmask_b32_e64 v31, v31, v34, s87
	v_cmp_eq_u32_e64 s87, 7, v38
	v_cndmask_b32_e64 v39, v39, v26, s82
	v_cndmask_b32_e64 v32, v32, v34, s88
	v_cmp_eq_u32_e64 s88, 8, v38
	v_cndmask_b32_e64 v33, v33, v34, s89
	v_cmp_eq_u32_e64 s89, 9, v38
	v_cndmask_b32_e64 v39, v39, v27, s83
	;; [unrolled: 5-line block ×5, first 2 shown]
	s_delay_alu instid0(VALU_DEP_1) | instskip(NEXT) | instid1(VALU_DEP_1)
	v_cndmask_b32_e64 v39, v39, v31, s87
	v_cndmask_b32_e64 v39, v39, v32, s88
	s_delay_alu instid0(VALU_DEP_1) | instskip(NEXT) | instid1(VALU_DEP_1)
	v_cndmask_b32_e64 v39, v39, v33, s89
	v_cndmask_b32_e64 v39, v39, v5, s90
	;; [unrolled: 3-line block ×4, first 2 shown]
	s_delay_alu instid0(VALU_DEP_1) | instskip(NEXT) | instid1(VALU_DEP_1)
	v_cndmask_b32_e64 v34, v34, v6, s95
	v_and_b32_e32 v34, 0xff, v34
	ds_swizzle_b32 v34, v34 offset:swizzle(SWAP,4)
	s_waitcnt lgkmcnt(0)
	v_cndmask_b32_e32 v7, v7, v34, vcc_lo
	v_cmp_eq_u32_e32 vcc_lo, 0, v38
	v_cndmask_b32_e64 v26, v26, v34, s82
	v_cndmask_b32_e64 v27, v27, v34, s83
	;; [unrolled: 1-line block ×4, first 2 shown]
	v_cndmask_b32_e32 v25, v25, v34, vcc_lo
	v_cmp_eq_u32_e32 vcc_lo, 0, v10
	v_cndmask_b32_e64 v30, v30, v34, s86
	v_cndmask_b32_e64 v31, v31, v34, s87
	;; [unrolled: 1-line block ×4, first 2 shown]
	v_cndmask_b32_e64 v38, 1, 5, vcc_lo
	v_cndmask_b32_e64 v33, v33, v34, s89
	v_cndmask_b32_e64 v5, v5, v34, s90
	;; [unrolled: 1-line block ×4, first 2 shown]
	v_cmp_eq_u32_e64 s82, 2, v38
	v_cmp_eq_u32_e64 s83, 3, v38
	;; [unrolled: 1-line block ×5, first 2 shown]
	v_cndmask_b32_e64 v39, v39, v26, s82
	v_cmp_eq_u32_e64 s87, 8, v38
	v_cmp_eq_u32_e64 s88, 9, v38
	v_cmp_eq_u32_e64 s89, 10, v38
	v_cmp_eq_u32_e64 s90, 11, v38
	v_cndmask_b32_e64 v39, v39, v27, s83
	v_cmp_eq_u32_e64 s91, 12, v38
	v_cndmask_b32_e64 v36, v36, v34, s93
	v_cmp_eq_u32_e64 s92, 13, v38
	v_cndmask_b32_e64 v37, v37, v34, s94
	v_cndmask_b32_e64 v39, v39, v28, s84
	v_cmp_eq_u32_e64 s93, 14, v38
	v_cndmask_b32_e64 v6, v6, v34, s95
	v_cmp_eq_u32_e64 s94, 15, v38
	v_cmp_eq_u32_e64 s95, 0, v38
	v_cndmask_b32_e32 v39, v39, v29, vcc_lo
	s_delay_alu instid0(VALU_DEP_1) | instskip(NEXT) | instid1(VALU_DEP_1)
	v_cndmask_b32_e64 v39, v39, v30, s85
	v_cndmask_b32_e64 v39, v39, v31, s86
	s_delay_alu instid0(VALU_DEP_1) | instskip(NEXT) | instid1(VALU_DEP_1)
	v_cndmask_b32_e64 v39, v39, v32, s87
	v_cndmask_b32_e64 v39, v39, v33, s88
	;; [unrolled: 3-line block ×4, first 2 shown]
	s_delay_alu instid0(VALU_DEP_1) | instskip(SKIP_1) | instid1(VALU_DEP_2)
	v_cndmask_b32_e64 v34, v39, v37, s93
	v_cndmask_b32_e64 v39, 2, 6, vcc_lo
	v_cndmask_b32_e64 v34, v34, v6, s94
	s_delay_alu instid0(VALU_DEP_1)
	v_and_b32_e32 v34, 0xff, v34
	ds_swizzle_b32 v34, v34 offset:swizzle(SWAP,4)
	s_waitcnt lgkmcnt(0)
	v_cndmask_b32_e64 v7, v7, v34, s0
	v_cndmask_b32_e64 v25, v25, v34, s95
	v_cndmask_b32_e64 v26, v26, v34, s82
	v_cmp_eq_u32_e64 s82, 1, v39
	v_cndmask_b32_e64 v27, v27, v34, s83
	v_cmp_eq_u32_e64 s83, 3, v39
	v_cndmask_b32_e64 v28, v28, v34, s84
	;; [unrolled: 2-line block ×3, first 2 shown]
	v_cndmask_b32_e32 v29, v29, v34, vcc_lo
	v_cndmask_b32_e64 v30, v30, v34, s85
	v_cmp_eq_u32_e64 s85, 5, v39
	v_cndmask_b32_e64 v31, v31, v34, s86
	v_cndmask_b32_e64 v38, v38, v26, s0
	v_cmp_eq_u32_e64 s86, 7, v39
	v_cndmask_b32_e64 v32, v32, v34, s87
	v_cmp_eq_u32_e64 s87, 8, v39
	v_cndmask_b32_e64 v33, v33, v34, s88
	v_cndmask_b32_e64 v38, v38, v27, s83
	v_cmp_eq_u32_e64 s88, 9, v39
	;; [unrolled: 5-line block ×4, first 2 shown]
	v_cndmask_b32_e64 v37, v37, v34, s93
	v_cmp_eq_u32_e64 s93, 14, v39
	v_cndmask_b32_e64 v6, v6, v34, s94
	v_cndmask_b32_e32 v38, v38, v30, vcc_lo
	v_cmp_eq_u32_e64 s94, 15, v39
	s_delay_alu instid0(VALU_DEP_2) | instskip(NEXT) | instid1(VALU_DEP_1)
	v_cndmask_b32_e64 v38, v38, v31, s86
	v_cndmask_b32_e64 v38, v38, v32, s87
	s_delay_alu instid0(VALU_DEP_1) | instskip(NEXT) | instid1(VALU_DEP_1)
	v_cndmask_b32_e64 v38, v38, v33, s88
	v_cndmask_b32_e64 v38, v38, v5, s89
	s_delay_alu instid0(VALU_DEP_1) | instskip(NEXT) | instid1(VALU_DEP_1)
	;; [unrolled: 3-line block ×3, first 2 shown]
	v_cndmask_b32_e64 v38, v38, v36, s92
	v_cndmask_b32_e64 v34, v38, v37, s93
	v_cndmask_b32_e64 v38, 3, 7, vcc_lo
	s_delay_alu instid0(VALU_DEP_2) | instskip(NEXT) | instid1(VALU_DEP_1)
	v_cndmask_b32_e64 v34, v34, v6, s94
	v_and_b32_e32 v34, 0xff, v34
	ds_swizzle_b32 v34, v34 offset:swizzle(SWAP,4)
	s_waitcnt lgkmcnt(0)
	v_cndmask_b32_e64 v7, v7, v34, s82
	v_cmp_eq_u32_e64 s82, 0, v39
	v_cndmask_b32_e64 v26, v26, v34, s0
	v_cndmask_b32_e64 v27, v27, v34, s83
	v_cmp_eq_u32_e64 s83, 2, v38
	v_cndmask_b32_e64 v28, v28, v34, s84
	v_cndmask_b32_e64 v25, v25, v34, s82
	v_cmp_eq_u32_e64 s82, 1, v38
	v_cmp_eq_u32_e64 s84, 4, v38
	v_cndmask_b32_e64 v29, v29, v34, s85
	v_cmp_eq_u32_e64 s85, 5, v38
	v_cndmask_b32_e32 v30, v30, v34, vcc_lo
	v_cndmask_b32_e64 v39, v25, v7, s82
	v_cndmask_b32_e64 v31, v31, v34, s86
	v_cmp_eq_u32_e64 s86, 6, v38
	v_cndmask_b32_e64 v32, v32, v34, s87
	v_cmp_eq_u32_e64 s87, 8, v38
	v_cndmask_b32_e64 v39, v39, v26, s83
	v_cndmask_b32_e64 v33, v33, v34, s88
	v_cmp_eq_u32_e64 s88, 9, v38
	v_cndmask_b32_e64 v5, v5, v34, s89
	v_cmp_eq_u32_e64 s89, 10, v38
	v_cndmask_b32_e64 v39, v39, v27, s0
	v_cndmask_b32_e64 v4, v4, v34, s90
	v_cmp_eq_u32_e64 s90, 11, v38
	v_cndmask_b32_e64 v35, v35, v34, s91
	v_cmp_eq_u32_e64 s91, 12, v38
	v_cndmask_b32_e64 v39, v39, v28, s84
	v_cndmask_b32_e64 v36, v36, v34, s92
	v_cmp_eq_u32_e64 s92, 13, v38
	v_cndmask_b32_e64 v37, v37, v34, s93
	v_cmp_eq_u32_e64 s93, 14, v38
	v_cndmask_b32_e64 v39, v39, v29, s85
	v_cndmask_b32_e64 v6, v6, v34, s94
	v_cmp_eq_u32_e64 s94, 15, v38
	s_delay_alu instid0(VALU_DEP_3) | instskip(NEXT) | instid1(VALU_DEP_1)
	v_cndmask_b32_e64 v39, v39, v30, s86
	v_cndmask_b32_e32 v39, v39, v31, vcc_lo
	s_delay_alu instid0(VALU_DEP_1) | instskip(NEXT) | instid1(VALU_DEP_1)
	v_cndmask_b32_e64 v39, v39, v32, s87
	v_cndmask_b32_e64 v39, v39, v33, s88
	s_delay_alu instid0(VALU_DEP_1) | instskip(NEXT) | instid1(VALU_DEP_1)
	v_cndmask_b32_e64 v39, v39, v5, s89
	v_cndmask_b32_e64 v39, v39, v4, s90
	;; [unrolled: 3-line block ×3, first 2 shown]
	s_delay_alu instid0(VALU_DEP_1) | instskip(SKIP_1) | instid1(VALU_DEP_2)
	v_cndmask_b32_e64 v34, v39, v37, s93
	v_cndmask_b32_e64 v39, 8, 12, vcc_lo
	v_cndmask_b32_e64 v34, v34, v6, s94
	s_delay_alu instid0(VALU_DEP_2) | instskip(NEXT) | instid1(VALU_DEP_2)
	v_cmp_eq_u32_e64 s95, 6, v39
	v_and_b32_e32 v34, 0xff, v34
	ds_swizzle_b32 v34, v34 offset:swizzle(SWAP,4)
	s_waitcnt lgkmcnt(0)
	v_cndmask_b32_e64 v7, v7, v34, s82
	v_cmp_eq_u32_e64 s82, 0, v38
	v_cndmask_b32_e64 v26, v26, v34, s83
	v_cmp_eq_u32_e64 s83, 2, v39
	v_cndmask_b32_e64 v27, v27, v34, s0
	v_cndmask_b32_e64 v28, v28, v34, s84
	;; [unrolled: 1-line block ×3, first 2 shown]
	v_cmp_eq_u32_e64 s82, 1, v39
	v_cmp_eq_u32_e64 s84, 3, v39
	v_cndmask_b32_e64 v29, v29, v34, s85
	v_cmp_eq_u32_e64 s85, 4, v39
	v_cndmask_b32_e64 v30, v30, v34, s86
	v_cndmask_b32_e64 v38, v25, v7, s82
	v_cmp_eq_u32_e64 s86, 5, v39
	v_cndmask_b32_e32 v31, v31, v34, vcc_lo
	v_cndmask_b32_e64 v32, v32, v34, s87
	v_cmp_eq_u32_e64 s87, 7, v39
	v_cndmask_b32_e64 v38, v38, v26, s83
	v_cndmask_b32_e64 v33, v33, v34, s88
	v_cmp_eq_u32_e64 s88, 9, v39
	v_cndmask_b32_e64 v5, v5, v34, s89
	v_cmp_eq_u32_e64 s89, 10, v39
	v_cndmask_b32_e64 v38, v38, v27, s84
	v_cndmask_b32_e64 v4, v4, v34, s90
	v_cmp_eq_u32_e64 s90, 11, v39
	v_cndmask_b32_e64 v35, v35, v34, s91
	v_cndmask_b32_e64 v36, v36, v34, s92
	;; [unrolled: 1-line block ×3, first 2 shown]
	v_cmp_eq_u32_e64 s91, 13, v39
	v_cndmask_b32_e64 v37, v37, v34, s93
	v_cmp_eq_u32_e64 s92, 14, v39
	v_cndmask_b32_e64 v6, v6, v34, s94
	v_cndmask_b32_e64 v38, v38, v29, s86
	v_cmp_eq_u32_e64 s93, 15, v39
	s_delay_alu instid0(VALU_DEP_2) | instskip(NEXT) | instid1(VALU_DEP_1)
	v_cndmask_b32_e64 v38, v38, v30, s95
	v_cndmask_b32_e64 v38, v38, v31, s87
	s_delay_alu instid0(VALU_DEP_1) | instskip(NEXT) | instid1(VALU_DEP_1)
	v_cndmask_b32_e64 v38, v38, v32, s0
	v_cndmask_b32_e64 v38, v38, v33, s88
	s_delay_alu instid0(VALU_DEP_1) | instskip(NEXT) | instid1(VALU_DEP_1)
	;; [unrolled: 3-line block ×3, first 2 shown]
	v_cndmask_b32_e32 v38, v38, v35, vcc_lo
	v_cndmask_b32_e64 v38, v38, v36, s91
	s_delay_alu instid0(VALU_DEP_1) | instskip(SKIP_1) | instid1(VALU_DEP_2)
	v_cndmask_b32_e64 v34, v38, v37, s92
	v_cndmask_b32_e64 v38, 9, 13, vcc_lo
	v_cndmask_b32_e64 v34, v34, v6, s93
	s_delay_alu instid0(VALU_DEP_2) | instskip(NEXT) | instid1(VALU_DEP_2)
	v_cmp_eq_u32_e64 s94, 7, v38
	v_and_b32_e32 v34, 0xff, v34
	ds_swizzle_b32 v34, v34 offset:swizzle(SWAP,4)
	s_waitcnt lgkmcnt(0)
	v_cndmask_b32_e64 v7, v7, v34, s82
	v_cmp_eq_u32_e64 s82, 0, v39
	v_cndmask_b32_e64 v26, v26, v34, s83
	v_cmp_eq_u32_e64 s83, 2, v38
	;; [unrolled: 2-line block ×6, first 2 shown]
	v_cndmask_b32_e64 v39, v25, v7, s82
	v_cndmask_b32_e64 v30, v30, v34, s95
	v_cndmask_b32_e64 v31, v31, v34, s87
	v_cmp_eq_u32_e64 s87, 6, v38
	v_cndmask_b32_e64 v32, v32, v34, s0
	v_cndmask_b32_e64 v39, v39, v26, s83
	;; [unrolled: 1-line block ×3, first 2 shown]
	v_cmp_eq_u32_e64 s88, 8, v38
	v_cndmask_b32_e64 v5, v5, v34, s89
	v_cmp_eq_u32_e64 s89, 10, v38
	v_cndmask_b32_e64 v39, v39, v27, s84
	v_cndmask_b32_e64 v4, v4, v34, s90
	v_cmp_eq_u32_e64 s90, 11, v38
	v_cndmask_b32_e32 v35, v35, v34, vcc_lo
	v_cndmask_b32_e64 v36, v36, v34, s91
	v_cndmask_b32_e64 v39, v39, v28, s85
	v_cmp_eq_u32_e64 s91, 12, v38
	v_cndmask_b32_e64 v37, v37, v34, s92
	v_cmp_eq_u32_e64 s92, 14, v38
	v_cndmask_b32_e64 v6, v6, v34, s93
	v_cndmask_b32_e64 v39, v39, v29, s86
	v_cmp_eq_u32_e64 s93, 15, v38
	s_delay_alu instid0(VALU_DEP_2) | instskip(NEXT) | instid1(VALU_DEP_1)
	v_cndmask_b32_e64 v39, v39, v30, s87
	v_cndmask_b32_e64 v39, v39, v31, s94
	s_delay_alu instid0(VALU_DEP_1) | instskip(NEXT) | instid1(VALU_DEP_1)
	v_cndmask_b32_e64 v39, v39, v32, s88
	v_cndmask_b32_e64 v39, v39, v33, s0
	s_delay_alu instid0(VALU_DEP_1) | instskip(NEXT) | instid1(VALU_DEP_1)
	;; [unrolled: 3-line block ×3, first 2 shown]
	v_cndmask_b32_e64 v39, v39, v35, s91
	v_cndmask_b32_e32 v39, v39, v36, vcc_lo
	s_delay_alu instid0(VALU_DEP_1) | instskip(SKIP_1) | instid1(VALU_DEP_2)
	v_cndmask_b32_e64 v34, v39, v37, s92
	v_cndmask_b32_e64 v39, 10, 14, vcc_lo
	v_cndmask_b32_e64 v34, v34, v6, s93
	s_delay_alu instid0(VALU_DEP_1)
	v_and_b32_e32 v34, 0xff, v34
	ds_swizzle_b32 v34, v34 offset:swizzle(SWAP,4)
	s_waitcnt lgkmcnt(0)
	v_cndmask_b32_e64 v7, v7, v34, s82
	v_cmp_eq_u32_e64 s82, 0, v38
	v_cndmask_b32_e64 v26, v26, v34, s83
	v_cmp_eq_u32_e64 s83, 2, v39
	;; [unrolled: 2-line block ×6, first 2 shown]
	v_cndmask_b32_e64 v38, v25, v7, s82
	v_cndmask_b32_e64 v30, v30, v34, s87
	v_cmp_eq_u32_e64 s87, 6, v39
	v_cndmask_b32_e64 v31, v31, v34, s94
	v_cndmask_b32_e64 v32, v32, v34, s88
	;; [unrolled: 1-line block ×3, first 2 shown]
	v_cmp_eq_u32_e64 s88, 7, v39
	v_cmp_eq_u32_e64 s94, 8, v39
	v_cndmask_b32_e64 v33, v33, v34, s0
	v_cndmask_b32_e64 v5, v5, v34, s89
	;; [unrolled: 1-line block ×3, first 2 shown]
	v_cmp_eq_u32_e64 s89, 9, v39
	v_cndmask_b32_e64 v4, v4, v34, s90
	v_cmp_eq_u32_e64 s90, 11, v39
	v_cndmask_b32_e64 v35, v35, v34, s91
	v_cndmask_b32_e64 v38, v38, v28, s85
	v_cmp_eq_u32_e64 s91, 12, v39
	v_cndmask_b32_e32 v36, v36, v34, vcc_lo
	v_cndmask_b32_e64 v37, v37, v34, s92
	v_cmp_eq_u32_e64 s92, 13, v39
	v_cndmask_b32_e64 v38, v38, v29, s86
	v_cndmask_b32_e64 v6, v6, v34, s93
	v_cmp_eq_u32_e64 s93, 15, v39
	s_delay_alu instid0(VALU_DEP_3) | instskip(NEXT) | instid1(VALU_DEP_1)
	v_cndmask_b32_e64 v38, v38, v30, s87
	v_cndmask_b32_e64 v38, v38, v31, s88
	s_delay_alu instid0(VALU_DEP_1) | instskip(NEXT) | instid1(VALU_DEP_1)
	v_cndmask_b32_e64 v38, v38, v32, s94
	v_cndmask_b32_e64 v38, v38, v33, s89
	s_delay_alu instid0(VALU_DEP_1) | instskip(NEXT) | instid1(VALU_DEP_1)
	;; [unrolled: 3-line block ×3, first 2 shown]
	v_cndmask_b32_e64 v38, v38, v35, s91
	v_cndmask_b32_e64 v38, v38, v36, s92
	s_delay_alu instid0(VALU_DEP_1) | instskip(SKIP_1) | instid1(VALU_DEP_2)
	v_cndmask_b32_e32 v34, v38, v37, vcc_lo
	v_cndmask_b32_e64 v38, 11, 15, vcc_lo
	v_cndmask_b32_e64 v34, v34, v6, s93
	s_delay_alu instid0(VALU_DEP_1)
	v_and_b32_e32 v34, 0xff, v34
	ds_swizzle_b32 v34, v34 offset:swizzle(SWAP,4)
	s_waitcnt lgkmcnt(0)
	v_cndmask_b32_e64 v7, v7, v34, s82
	v_cmp_eq_u32_e64 s82, 0, v39
	v_cndmask_b32_e64 v26, v26, v34, s83
	v_cmp_eq_u32_e64 s83, 2, v38
	;; [unrolled: 2-line block ×6, first 2 shown]
	v_cndmask_b32_e64 v39, v25, v7, s82
	v_cndmask_b32_e64 v30, v30, v34, s87
	v_cmp_eq_u32_e64 s87, 6, v38
	v_cndmask_b32_e64 v31, v31, v34, s88
	v_cmp_eq_u32_e64 s88, 7, v38
	v_cndmask_b32_e64 v39, v39, v26, s83
	v_cndmask_b32_e64 v32, v32, v34, s94
	;; [unrolled: 1-line block ×3, first 2 shown]
	v_cmp_eq_u32_e64 s89, 8, v38
	v_cmp_eq_u32_e64 s94, 9, v38
	v_cndmask_b32_e64 v39, v39, v27, s84
	v_cndmask_b32_e64 v5, v5, v34, s0
	;; [unrolled: 1-line block ×3, first 2 shown]
	v_cmp_eq_u32_e64 s90, 10, v38
	v_cndmask_b32_e64 v35, v35, v34, s91
	v_cndmask_b32_e64 v39, v39, v28, s85
	v_cmp_eq_u32_e64 s91, 12, v38
	v_cndmask_b32_e64 v36, v36, v34, s92
	v_cmp_eq_u32_e64 s92, 13, v38
	v_cndmask_b32_e32 v37, v37, v34, vcc_lo
	v_cndmask_b32_e64 v39, v39, v29, s86
	v_cndmask_b32_e64 v6, v6, v34, s93
	v_cmp_eq_u32_e64 s93, 14, v38
	s_delay_alu instid0(VALU_DEP_3) | instskip(NEXT) | instid1(VALU_DEP_1)
	v_cndmask_b32_e64 v39, v39, v30, s87
	v_cndmask_b32_e64 v39, v39, v31, s88
	s_delay_alu instid0(VALU_DEP_1) | instskip(NEXT) | instid1(VALU_DEP_1)
	v_cndmask_b32_e64 v39, v39, v32, s89
	v_cndmask_b32_e64 v39, v39, v33, s94
	s_delay_alu instid0(VALU_DEP_1) | instskip(NEXT) | instid1(VALU_DEP_1)
	v_cndmask_b32_e64 v39, v39, v5, s90
	v_cndmask_b32_e64 v39, v39, v4, s0
	s_delay_alu instid0(VALU_DEP_1) | instskip(NEXT) | instid1(VALU_DEP_1)
	v_cndmask_b32_e64 v39, v39, v35, s91
	v_cndmask_b32_e64 v39, v39, v36, s92
	s_delay_alu instid0(VALU_DEP_1) | instskip(NEXT) | instid1(VALU_DEP_1)
	v_cndmask_b32_e64 v34, v39, v37, s93
	v_dual_cndmask_b32 v34, v34, v6 :: v_dual_and_b32 v39, 2, v9
	s_delay_alu instid0(VALU_DEP_1) | instskip(NEXT) | instid1(VALU_DEP_2)
	v_xor_b32_e32 v40, 2, v39
	v_and_b32_e32 v34, 0xff, v34
	s_delay_alu instid0(VALU_DEP_2)
	v_cmp_eq_u32_e64 s95, 15, v40
	ds_swizzle_b32 v34, v34 offset:swizzle(SWAP,4)
	s_waitcnt lgkmcnt(0)
	v_cndmask_b32_e64 v7, v7, v34, s82
	v_cmp_eq_u32_e64 s82, 0, v38
	v_cndmask_b32_e64 v26, v26, v34, s83
	v_cmp_eq_u32_e64 s83, 2, v40
	;; [unrolled: 2-line block ×6, first 2 shown]
	v_cndmask_b32_e64 v38, v25, v7, s82
	v_cndmask_b32_e64 v30, v30, v34, s87
	v_cmp_eq_u32_e64 s87, 6, v40
	v_cndmask_b32_e64 v31, v31, v34, s88
	v_cmp_eq_u32_e64 s88, 7, v40
	v_cndmask_b32_e64 v38, v38, v26, s83
	v_cndmask_b32_e64 v32, v32, v34, s89
	v_cmp_eq_u32_e64 s89, 8, v40
	v_cndmask_b32_e64 v33, v33, v34, s94
	v_cndmask_b32_e64 v5, v5, v34, s90
	;; [unrolled: 1-line block ×3, first 2 shown]
	v_cmp_eq_u32_e64 s90, 9, v40
	v_cmp_eq_u32_e64 s94, 10, v40
	v_cndmask_b32_e64 v4, v4, v34, s0
	v_cndmask_b32_e64 v35, v35, v34, s91
	;; [unrolled: 1-line block ×3, first 2 shown]
	v_cmp_eq_u32_e64 s91, 11, v40
	v_cndmask_b32_e64 v36, v36, v34, s92
	v_cmp_eq_u32_e64 s92, 12, v40
	v_cndmask_b32_e64 v37, v37, v34, s93
	v_cndmask_b32_e64 v38, v38, v29, s86
	v_cmp_eq_u32_e64 s93, 13, v40
	v_cndmask_b32_e32 v6, v6, v34, vcc_lo
	v_cmp_eq_u32_e32 vcc_lo, 14, v40
	s_delay_alu instid0(VALU_DEP_4) | instskip(NEXT) | instid1(VALU_DEP_1)
	v_cndmask_b32_e64 v38, v38, v30, s87
	v_cndmask_b32_e64 v38, v38, v31, s88
	s_delay_alu instid0(VALU_DEP_1) | instskip(NEXT) | instid1(VALU_DEP_1)
	v_cndmask_b32_e64 v38, v38, v32, s89
	v_cndmask_b32_e64 v38, v38, v33, s90
	s_delay_alu instid0(VALU_DEP_1) | instskip(NEXT) | instid1(VALU_DEP_1)
	;; [unrolled: 3-line block ×4, first 2 shown]
	v_cndmask_b32_e32 v34, v38, v37, vcc_lo
	v_cndmask_b32_e64 v34, v34, v6, s95
	s_delay_alu instid0(VALU_DEP_1)
	v_and_b32_e32 v34, 0xff, v34
	ds_swizzle_b32 v34, v34 offset:swizzle(SWAP,2)
	s_waitcnt lgkmcnt(0)
	v_cndmask_b32_e64 v7, v7, v34, s82
	v_cmp_eq_u32_e64 s82, 0, v40
	v_cndmask_b32_e64 v26, v26, v34, s83
	v_cmp_ne_u32_e64 s83, 0, v39
	v_cndmask_b32_e64 v27, v27, v34, s84
	v_cndmask_b32_e64 v28, v28, v34, s85
	;; [unrolled: 1-line block ×3, first 2 shown]
	v_cmp_eq_u32_e64 s82, 0, v39
	v_cndmask_b32_e64 v29, v29, v34, s86
	v_cndmask_b32_e64 v30, v30, v34, s87
	;; [unrolled: 1-line block ×9, first 2 shown]
	v_cmp_eq_u32_e64 s84, 2, v38
	v_cmp_eq_u32_e64 s85, 4, v38
	;; [unrolled: 1-line block ×5, first 2 shown]
	v_cndmask_b32_e64 v39, v39, v26, s84
	v_cmp_eq_u32_e64 s89, 8, v38
	v_cmp_eq_u32_e64 s90, 9, v38
	;; [unrolled: 1-line block ×3, first 2 shown]
	v_cndmask_b32_e64 v35, v35, v34, s92
	v_cndmask_b32_e64 v39, v39, v27, s82
	v_cmp_eq_u32_e64 s92, 11, v38
	v_cndmask_b32_e64 v36, v36, v34, s93
	v_cmp_eq_u32_e64 s93, 12, v38
	v_cndmask_b32_e32 v37, v37, v34, vcc_lo
	v_cndmask_b32_e64 v39, v39, v28, s85
	v_cmp_eq_u32_e32 vcc_lo, 13, v38
	v_cmp_eq_u32_e64 s94, 14, v38
	v_cndmask_b32_e64 v6, v6, v34, s95
	v_cmp_eq_u32_e64 s95, 15, v38
	v_cndmask_b32_e64 v39, v39, v29, s86
	v_cmp_eq_u32_e64 s96, 0, v38
	s_delay_alu instid0(VALU_DEP_2) | instskip(NEXT) | instid1(VALU_DEP_1)
	v_cndmask_b32_e64 v39, v39, v30, s87
	v_cndmask_b32_e64 v39, v39, v31, s88
	s_delay_alu instid0(VALU_DEP_1) | instskip(NEXT) | instid1(VALU_DEP_1)
	v_cndmask_b32_e64 v39, v39, v32, s89
	v_cndmask_b32_e64 v39, v39, v33, s90
	s_delay_alu instid0(VALU_DEP_1) | instskip(NEXT) | instid1(VALU_DEP_1)
	;; [unrolled: 3-line block ×3, first 2 shown]
	v_cndmask_b32_e64 v39, v39, v35, s93
	v_cndmask_b32_e32 v39, v39, v36, vcc_lo
	s_delay_alu instid0(VALU_DEP_1) | instskip(SKIP_1) | instid1(VALU_DEP_2)
	v_cndmask_b32_e64 v34, v39, v37, s94
	v_cndmask_b32_e64 v39, 4, 6, s82
	;; [unrolled: 1-line block ×3, first 2 shown]
	s_delay_alu instid0(VALU_DEP_1)
	v_and_b32_e32 v34, 0xff, v34
	ds_swizzle_b32 v34, v34 offset:swizzle(SWAP,2)
	s_waitcnt lgkmcnt(0)
	v_cndmask_b32_e64 v7, v7, v34, s83
	v_cndmask_b32_e64 v25, v25, v34, s96
	;; [unrolled: 1-line block ×3, first 2 shown]
	v_cmp_eq_u32_e64 s84, 1, v39
	v_cmp_eq_u32_e64 s96, 2, v39
	v_cndmask_b32_e64 v27, v27, v34, s82
	v_cndmask_b32_e64 v28, v28, v34, s85
	v_cmp_eq_u32_e64 s85, 3, v39
	v_cndmask_b32_e64 v38, v25, v7, s84
	v_cndmask_b32_e64 v29, v29, v34, s86
	;; [unrolled: 3-line block ×3, first 2 shown]
	v_cndmask_b32_e64 v38, v38, v26, s96
	v_cmp_eq_u32_e64 s87, 7, v39
	v_cndmask_b32_e64 v32, v32, v34, s89
	v_cmp_eq_u32_e64 s88, 8, v39
	v_cndmask_b32_e64 v33, v33, v34, s90
	v_cndmask_b32_e64 v38, v38, v27, s85
	v_cmp_eq_u32_e64 s89, 9, v39
	v_cndmask_b32_e64 v5, v5, v34, s91
	v_cmp_eq_u32_e64 s90, 10, v39
	v_cndmask_b32_e64 v4, v4, v34, s92
	v_cndmask_b32_e64 v38, v38, v28, s83
	v_cmp_eq_u32_e64 s91, 11, v39
	v_cndmask_b32_e64 v35, v35, v34, s93
	v_cndmask_b32_e32 v36, v36, v34, vcc_lo
	v_cmp_eq_u32_e32 vcc_lo, 12, v39
	v_cndmask_b32_e64 v38, v38, v29, s86
	v_cmp_eq_u32_e64 s92, 13, v39
	v_cndmask_b32_e64 v37, v37, v34, s94
	v_cmp_eq_u32_e64 s93, 14, v39
	v_cndmask_b32_e64 v6, v6, v34, s95
	v_cndmask_b32_e64 v38, v38, v30, s82
	v_cmp_eq_u32_e64 s94, 15, v39
	s_delay_alu instid0(VALU_DEP_2) | instskip(NEXT) | instid1(VALU_DEP_1)
	v_cndmask_b32_e64 v38, v38, v31, s87
	v_cndmask_b32_e64 v38, v38, v32, s88
	s_delay_alu instid0(VALU_DEP_1) | instskip(NEXT) | instid1(VALU_DEP_1)
	v_cndmask_b32_e64 v38, v38, v33, s89
	v_cndmask_b32_e64 v38, v38, v5, s90
	s_delay_alu instid0(VALU_DEP_1) | instskip(NEXT) | instid1(VALU_DEP_1)
	v_cndmask_b32_e64 v38, v38, v4, s91
	v_cndmask_b32_e32 v38, v38, v35, vcc_lo
	s_delay_alu instid0(VALU_DEP_1) | instskip(NEXT) | instid1(VALU_DEP_1)
	v_cndmask_b32_e64 v38, v38, v36, s92
	v_cndmask_b32_e64 v34, v38, v37, s93
	;; [unrolled: 1-line block ×3, first 2 shown]
	s_delay_alu instid0(VALU_DEP_2) | instskip(NEXT) | instid1(VALU_DEP_2)
	v_cndmask_b32_e64 v34, v34, v6, s94
	v_cmp_eq_u32_e64 s95, 3, v38
	s_delay_alu instid0(VALU_DEP_2)
	v_and_b32_e32 v34, 0xff, v34
	ds_swizzle_b32 v34, v34 offset:swizzle(SWAP,2)
	s_waitcnt lgkmcnt(0)
	v_cndmask_b32_e64 v7, v7, v34, s84
	v_cmp_eq_u32_e64 s84, 0, v39
	v_cndmask_b32_e64 v26, v26, v34, s96
	v_cndmask_b32_e64 v27, v27, v34, s85
	v_cmp_eq_u32_e64 s85, 2, v38
	v_cndmask_b32_e64 v28, v28, v34, s83
	;; [unrolled: 3-line block ×3, first 2 shown]
	v_cmp_eq_u32_e64 s86, 4, v38
	v_cndmask_b32_e64 v30, v30, v34, s82
	v_cndmask_b32_e64 v31, v31, v34, s87
	;; [unrolled: 1-line block ×3, first 2 shown]
	v_cmp_eq_u32_e64 s87, 6, v38
	v_cndmask_b32_e64 v32, v32, v34, s88
	v_cmp_eq_u32_e64 s88, 8, v38
	v_cndmask_b32_e64 v33, v33, v34, s89
	v_cndmask_b32_e64 v39, v39, v26, s85
	v_cmp_eq_u32_e64 s89, 9, v38
	v_cndmask_b32_e64 v5, v5, v34, s90
	v_cmp_eq_u32_e64 s90, 10, v38
	v_cndmask_b32_e64 v4, v4, v34, s91
	v_cndmask_b32_e64 v39, v39, v27, s95
	v_cndmask_b32_e32 v35, v35, v34, vcc_lo
	v_cmp_eq_u32_e32 vcc_lo, 11, v38
	v_cmp_eq_u32_e64 s91, 12, v38
	v_cndmask_b32_e64 v36, v36, v34, s92
	v_cndmask_b32_e64 v39, v39, v28, s86
	v_cmp_eq_u32_e64 s92, 13, v38
	v_cndmask_b32_e64 v37, v37, v34, s93
	v_cmp_eq_u32_e64 s93, 14, v38
	v_cndmask_b32_e64 v6, v6, v34, s94
	v_cndmask_b32_e64 v39, v39, v29, s83
	v_cmp_eq_u32_e64 s94, 15, v38
	s_delay_alu instid0(VALU_DEP_2) | instskip(NEXT) | instid1(VALU_DEP_1)
	v_cndmask_b32_e64 v39, v39, v30, s87
	v_cndmask_b32_e64 v39, v39, v31, s82
	s_delay_alu instid0(VALU_DEP_1) | instskip(NEXT) | instid1(VALU_DEP_1)
	v_cndmask_b32_e64 v39, v39, v32, s88
	v_cndmask_b32_e64 v39, v39, v33, s89
	s_delay_alu instid0(VALU_DEP_1) | instskip(NEXT) | instid1(VALU_DEP_1)
	v_cndmask_b32_e64 v39, v39, v5, s90
	v_cndmask_b32_e32 v39, v39, v4, vcc_lo
	s_delay_alu instid0(VALU_DEP_1) | instskip(NEXT) | instid1(VALU_DEP_1)
	v_cndmask_b32_e64 v39, v39, v35, s91
	v_cndmask_b32_e64 v39, v39, v36, s92
	s_delay_alu instid0(VALU_DEP_1) | instskip(SKIP_1) | instid1(VALU_DEP_2)
	v_cndmask_b32_e64 v34, v39, v37, s93
	v_cndmask_b32_e64 v39, 8, 10, s82
	;; [unrolled: 1-line block ×3, first 2 shown]
	s_delay_alu instid0(VALU_DEP_2) | instskip(NEXT) | instid1(VALU_DEP_2)
	v_cmp_eq_u32_e64 s96, 6, v39
	v_and_b32_e32 v34, 0xff, v34
	ds_swizzle_b32 v34, v34 offset:swizzle(SWAP,2)
	s_waitcnt lgkmcnt(0)
	v_cndmask_b32_e64 v7, v7, v34, s84
	v_cmp_eq_u32_e64 s84, 0, v38
	v_cndmask_b32_e64 v26, v26, v34, s85
	v_cmp_eq_u32_e64 s85, 2, v39
	v_cndmask_b32_e64 v27, v27, v34, s95
	v_cndmask_b32_e64 v28, v28, v34, s86
	;; [unrolled: 1-line block ×3, first 2 shown]
	v_cmp_eq_u32_e64 s84, 1, v39
	v_cmp_eq_u32_e64 s86, 3, v39
	v_cmp_eq_u32_e64 s95, 4, v39
	v_cndmask_b32_e64 v29, v29, v34, s83
	v_cndmask_b32_e64 v30, v30, v34, s87
	;; [unrolled: 1-line block ×3, first 2 shown]
	v_cmp_eq_u32_e64 s87, 5, v39
	v_cndmask_b32_e64 v31, v31, v34, s82
	v_cndmask_b32_e64 v32, v32, v34, s88
	v_cmp_eq_u32_e64 s88, 7, v39
	v_cndmask_b32_e64 v38, v38, v26, s85
	v_cndmask_b32_e64 v33, v33, v34, s89
	v_cmp_eq_u32_e64 s89, 9, v39
	v_cndmask_b32_e64 v5, v5, v34, s90
	v_cndmask_b32_e32 v4, v4, v34, vcc_lo
	v_cndmask_b32_e64 v38, v38, v27, s86
	v_cmp_eq_u32_e32 vcc_lo, 11, v39
	v_cndmask_b32_e64 v35, v35, v34, s91
	v_cmp_eq_u32_e64 s90, 12, v39
	v_cndmask_b32_e64 v36, v36, v34, s92
	v_cndmask_b32_e64 v38, v38, v28, s95
	v_cmp_eq_u32_e64 s91, 13, v39
	v_cndmask_b32_e64 v37, v37, v34, s93
	v_cmp_eq_u32_e64 s92, 14, v39
	v_cndmask_b32_e64 v6, v6, v34, s94
	v_cndmask_b32_e64 v38, v38, v29, s87
	v_cmp_eq_u32_e64 s93, 15, v39
	s_delay_alu instid0(VALU_DEP_2) | instskip(NEXT) | instid1(VALU_DEP_1)
	v_cndmask_b32_e64 v38, v38, v30, s96
	v_cndmask_b32_e64 v38, v38, v31, s88
	s_delay_alu instid0(VALU_DEP_1) | instskip(NEXT) | instid1(VALU_DEP_1)
	v_cndmask_b32_e64 v38, v38, v32, s83
	v_cndmask_b32_e64 v38, v38, v33, s89
	s_delay_alu instid0(VALU_DEP_1) | instskip(NEXT) | instid1(VALU_DEP_1)
	v_cndmask_b32_e64 v38, v38, v5, s82
	v_cndmask_b32_e32 v38, v38, v4, vcc_lo
	s_delay_alu instid0(VALU_DEP_1) | instskip(NEXT) | instid1(VALU_DEP_1)
	v_cndmask_b32_e64 v38, v38, v35, s90
	v_cndmask_b32_e64 v38, v38, v36, s91
	s_delay_alu instid0(VALU_DEP_1) | instskip(SKIP_1) | instid1(VALU_DEP_2)
	v_cndmask_b32_e64 v34, v38, v37, s92
	v_cndmask_b32_e64 v38, 9, 11, s82
	;; [unrolled: 1-line block ×3, first 2 shown]
	s_delay_alu instid0(VALU_DEP_2) | instskip(NEXT) | instid1(VALU_DEP_2)
	v_cmp_eq_u32_e64 s94, 5, v38
	v_and_b32_e32 v34, 0xff, v34
	ds_swizzle_b32 v34, v34 offset:swizzle(SWAP,2)
	s_waitcnt lgkmcnt(0)
	v_cndmask_b32_e64 v7, v7, v34, s84
	v_cmp_eq_u32_e64 s84, 0, v39
	v_cndmask_b32_e64 v26, v26, v34, s85
	v_cmp_eq_u32_e64 s85, 2, v38
	;; [unrolled: 2-line block ×4, first 2 shown]
	v_cndmask_b32_e64 v28, v28, v34, s95
	v_cndmask_b32_e64 v29, v29, v34, s87
	v_cmp_eq_u32_e64 s87, 4, v38
	v_cndmask_b32_e64 v30, v30, v34, s96
	v_cndmask_b32_e64 v39, v25, v7, s84
	v_cndmask_b32_e64 v31, v31, v34, s88
	v_cmp_eq_u32_e64 s88, 6, v38
	v_cmp_eq_u32_e64 s95, 7, v38
	v_cndmask_b32_e64 v32, v32, v34, s83
	v_cndmask_b32_e64 v39, v39, v26, s85
	;; [unrolled: 1-line block ×3, first 2 shown]
	v_cmp_eq_u32_e64 s89, 8, v38
	v_cndmask_b32_e64 v5, v5, v34, s82
	v_cndmask_b32_e32 v4, v4, v34, vcc_lo
	v_cndmask_b32_e64 v39, v39, v27, s86
	v_cmp_eq_u32_e32 vcc_lo, 10, v38
	v_cndmask_b32_e64 v35, v35, v34, s90
	v_cmp_eq_u32_e64 s90, 12, v38
	v_cndmask_b32_e64 v36, v36, v34, s91
	v_cndmask_b32_e64 v39, v39, v28, s87
	v_cmp_eq_u32_e64 s91, 13, v38
	v_cndmask_b32_e64 v37, v37, v34, s92
	v_cmp_eq_u32_e64 s92, 14, v38
	v_cndmask_b32_e64 v6, v6, v34, s93
	v_cndmask_b32_e64 v39, v39, v29, s94
	v_cmp_eq_u32_e64 s93, 15, v38
	s_delay_alu instid0(VALU_DEP_2) | instskip(NEXT) | instid1(VALU_DEP_1)
	v_cndmask_b32_e64 v39, v39, v30, s88
	v_cndmask_b32_e64 v39, v39, v31, s95
	s_delay_alu instid0(VALU_DEP_1) | instskip(NEXT) | instid1(VALU_DEP_1)
	v_cndmask_b32_e64 v39, v39, v32, s89
	v_cndmask_b32_e64 v39, v39, v33, s83
	s_delay_alu instid0(VALU_DEP_1) | instskip(NEXT) | instid1(VALU_DEP_1)
	v_cndmask_b32_e32 v39, v39, v5, vcc_lo
	v_cndmask_b32_e64 v39, v39, v4, s82
	s_delay_alu instid0(VALU_DEP_1) | instskip(NEXT) | instid1(VALU_DEP_1)
	v_cndmask_b32_e64 v39, v39, v35, s90
	v_cndmask_b32_e64 v39, v39, v36, s91
	s_delay_alu instid0(VALU_DEP_1) | instskip(SKIP_1) | instid1(VALU_DEP_2)
	v_cndmask_b32_e64 v34, v39, v37, s92
	v_cndmask_b32_e64 v39, 12, 14, s82
	;; [unrolled: 1-line block ×3, first 2 shown]
	s_delay_alu instid0(VALU_DEP_2) | instskip(NEXT) | instid1(VALU_DEP_2)
	v_cmp_eq_u32_e64 s96, 10, v39
	v_and_b32_e32 v34, 0xff, v34
	ds_swizzle_b32 v34, v34 offset:swizzle(SWAP,2)
	s_waitcnt lgkmcnt(0)
	v_cndmask_b32_e64 v7, v7, v34, s84
	v_cmp_eq_u32_e64 s84, 0, v38
	v_cndmask_b32_e64 v26, v26, v34, s85
	v_cmp_eq_u32_e64 s85, 2, v39
	;; [unrolled: 2-line block ×5, first 2 shown]
	v_cndmask_b32_e64 v29, v29, v34, s94
	v_cndmask_b32_e64 v30, v30, v34, s88
	;; [unrolled: 1-line block ×3, first 2 shown]
	v_cmp_eq_u32_e64 s88, 5, v39
	v_cmp_eq_u32_e64 s94, 6, v39
	v_cndmask_b32_e64 v31, v31, v34, s95
	v_cndmask_b32_e64 v32, v32, v34, s89
	;; [unrolled: 1-line block ×3, first 2 shown]
	v_cmp_eq_u32_e64 s89, 7, v39
	v_cmp_eq_u32_e64 s95, 8, v39
	v_cndmask_b32_e64 v33, v33, v34, s83
	v_cndmask_b32_e32 v5, v5, v34, vcc_lo
	v_cndmask_b32_e64 v38, v38, v27, s86
	v_cmp_eq_u32_e32 vcc_lo, 9, v39
	v_cndmask_b32_e64 v4, v4, v34, s82
	v_cndmask_b32_e64 v35, v35, v34, s90
	v_cmp_eq_u32_e64 s90, 11, v39
	v_cndmask_b32_e64 v38, v38, v28, s87
	v_cndmask_b32_e64 v36, v36, v34, s91
	v_cmp_eq_u32_e64 s91, 13, v39
	v_cndmask_b32_e64 v37, v37, v34, s92
	v_cndmask_b32_e64 v6, v6, v34, s93
	;; [unrolled: 1-line block ×3, first 2 shown]
	v_cmp_eq_u32_e64 s92, 15, v39
	s_delay_alu instid0(VALU_DEP_2) | instskip(NEXT) | instid1(VALU_DEP_1)
	v_cndmask_b32_e64 v38, v38, v30, s94
	v_cndmask_b32_e64 v38, v38, v31, s89
	s_delay_alu instid0(VALU_DEP_1) | instskip(NEXT) | instid1(VALU_DEP_1)
	v_cndmask_b32_e64 v38, v38, v32, s95
	v_cndmask_b32_e32 v38, v38, v33, vcc_lo
	s_delay_alu instid0(VALU_DEP_1) | instskip(NEXT) | instid1(VALU_DEP_1)
	v_cndmask_b32_e64 v38, v38, v5, s96
	v_cndmask_b32_e64 v38, v38, v4, s90
	s_delay_alu instid0(VALU_DEP_1) | instskip(NEXT) | instid1(VALU_DEP_1)
	v_cndmask_b32_e64 v38, v38, v35, s83
	v_cndmask_b32_e64 v38, v38, v36, s91
	s_delay_alu instid0(VALU_DEP_1) | instskip(SKIP_1) | instid1(VALU_DEP_2)
	v_cndmask_b32_e64 v34, v38, v37, s82
	v_cndmask_b32_e64 v38, 13, 15, s82
	;; [unrolled: 1-line block ×3, first 2 shown]
	s_delay_alu instid0(VALU_DEP_2) | instskip(NEXT) | instid1(VALU_DEP_2)
	v_cmp_eq_u32_e64 s93, 7, v38
	v_and_b32_e32 v34, 0xff, v34
	ds_swizzle_b32 v34, v34 offset:swizzle(SWAP,2)
	s_waitcnt lgkmcnt(0)
	v_cndmask_b32_e64 v7, v7, v34, s84
	v_cmp_eq_u32_e64 s84, 0, v39
	v_cndmask_b32_e64 v26, v26, v34, s85
	v_cmp_eq_u32_e64 s85, 2, v38
	;; [unrolled: 2-line block ×6, first 2 shown]
	v_cndmask_b32_e64 v39, v25, v7, s84
	v_cndmask_b32_e64 v30, v30, v34, s94
	;; [unrolled: 1-line block ×3, first 2 shown]
	v_cmp_eq_u32_e64 s89, 6, v38
	v_cndmask_b32_e64 v32, v32, v34, s95
	v_cndmask_b32_e64 v39, v39, v26, s85
	v_cmp_eq_u32_e64 s94, 8, v38
	v_cndmask_b32_e32 v33, v33, v34, vcc_lo
	v_cmp_eq_u32_e64 s95, 9, v38
	v_cndmask_b32_e64 v5, v5, v34, s96
	v_cndmask_b32_e64 v39, v39, v27, s86
	v_cndmask_b32_e64 v4, v4, v34, s90
	v_cmp_eq_u32_e64 s90, 10, v38
	v_cmp_eq_u32_e64 s96, 11, v38
	v_cndmask_b32_e64 v35, v35, v34, s83
	v_cndmask_b32_e64 v39, v39, v28, s87
	;; [unrolled: 1-line block ×3, first 2 shown]
	v_cmp_eq_u32_e64 s91, 12, v38
	v_cndmask_b32_e64 v37, v37, v34, s82
	v_cndmask_b32_e64 v6, v6, v34, s92
	;; [unrolled: 1-line block ×3, first 2 shown]
	v_cmp_eq_u32_e64 s92, 14, v38
	v_cmp_eq_u32_e32 vcc_lo, 0, v38
	s_delay_alu instid0(VALU_DEP_3) | instskip(NEXT) | instid1(VALU_DEP_1)
	v_cndmask_b32_e64 v39, v39, v30, s89
	v_cndmask_b32_e64 v39, v39, v31, s93
	s_delay_alu instid0(VALU_DEP_1) | instskip(NEXT) | instid1(VALU_DEP_1)
	v_cndmask_b32_e64 v39, v39, v32, s94
	v_cndmask_b32_e64 v39, v39, v33, s95
	s_delay_alu instid0(VALU_DEP_1) | instskip(NEXT) | instid1(VALU_DEP_1)
	v_cndmask_b32_e64 v39, v39, v5, s90
	v_cndmask_b32_e64 v39, v39, v4, s96
	s_delay_alu instid0(VALU_DEP_1) | instskip(NEXT) | instid1(VALU_DEP_1)
	v_cndmask_b32_e64 v39, v39, v35, s91
	v_cndmask_b32_e64 v39, v39, v36, s83
	s_delay_alu instid0(VALU_DEP_1) | instskip(SKIP_1) | instid1(VALU_DEP_2)
	v_cndmask_b32_e64 v34, v39, v37, s92
	v_and_b32_e32 v39, 1, v9
	v_cndmask_b32_e64 v34, v34, v6, s82
	s_delay_alu instid0(VALU_DEP_2) | instskip(NEXT) | instid1(VALU_DEP_2)
	v_xor_b32_e32 v38, 1, v39
	v_and_b32_e32 v34, 0xff, v34
	ds_swizzle_b32 v34, v34 offset:swizzle(SWAP,2)
	s_waitcnt lgkmcnt(0)
	v_cndmask_b32_e32 v25, v25, v34, vcc_lo
	v_cndmask_b32_e64 v7, v7, v34, s84
	v_cmp_eq_u32_e32 vcc_lo, 1, v39
	v_cndmask_b32_e64 v26, v26, v34, s85
	v_cmp_eq_u32_e64 s84, 2, v38
	v_cndmask_b32_e64 v27, v27, v34, s86
	v_cmp_eq_u32_e64 s85, 3, v38
	v_cndmask_b32_e32 v40, v7, v25, vcc_lo
	v_cndmask_b32_e64 v28, v28, v34, s87
	v_cmp_eq_u32_e64 s86, 4, v38
	v_cndmask_b32_e64 v29, v29, v34, s88
	v_cmp_eq_u32_e64 s87, 5, v38
	v_cndmask_b32_e64 v40, v40, v26, s84
	v_cndmask_b32_e64 v30, v30, v34, s89
	v_cmp_eq_u32_e64 s88, 6, v38
	v_cndmask_b32_e64 v31, v31, v34, s93
	v_cmp_eq_u32_e64 s89, 7, v38
	v_cndmask_b32_e64 v40, v40, v27, s85
	v_cndmask_b32_e64 v32, v32, v34, s94
	v_cmp_eq_u32_e64 s93, 8, v38
	v_cndmask_b32_e64 v33, v33, v34, s95
	v_cndmask_b32_e64 v5, v5, v34, s90
	;; [unrolled: 1-line block ×3, first 2 shown]
	v_cmp_eq_u32_e64 s90, 9, v38
	v_cmp_eq_u32_e64 s94, 10, v38
	v_cndmask_b32_e64 v4, v4, v34, s96
	v_cndmask_b32_e64 v35, v35, v34, s91
	v_cndmask_b32_e64 v40, v40, v29, s87
	v_cmp_eq_u32_e64 s91, 11, v38
	v_cndmask_b32_e64 v36, v36, v34, s83
	v_cmp_eq_u32_e64 s83, 12, v38
	v_cndmask_b32_e64 v37, v37, v34, s92
	v_cndmask_b32_e64 v40, v40, v30, s88
	v_cmp_eq_u32_e64 s92, 13, v38
	v_cmp_eq_u32_e64 s95, 14, v38
	v_cndmask_b32_e64 v6, v6, v34, s82
	v_cmp_eq_u32_e64 s96, 15, v38
	v_cndmask_b32_e64 v40, v40, v31, s89
	v_cmp_eq_u32_e64 s82, 0, v39
	s_delay_alu instid0(VALU_DEP_2) | instskip(NEXT) | instid1(VALU_DEP_2)
	v_cndmask_b32_e64 v40, v40, v32, s93
	v_cndmask_b32_e64 v38, 2, 3, s82
	s_delay_alu instid0(VALU_DEP_2) | instskip(NEXT) | instid1(VALU_DEP_1)
	v_cndmask_b32_e64 v40, v40, v33, s90
	v_cndmask_b32_e64 v40, v40, v5, s94
	s_delay_alu instid0(VALU_DEP_1) | instskip(NEXT) | instid1(VALU_DEP_1)
	v_cndmask_b32_e64 v40, v40, v4, s91
	v_cndmask_b32_e64 v40, v40, v35, s83
	s_delay_alu instid0(VALU_DEP_1) | instskip(NEXT) | instid1(VALU_DEP_1)
	;; [unrolled: 3-line block ×3, first 2 shown]
	v_cndmask_b32_e64 v34, v34, v6, s96
	v_and_b32_e32 v34, 0xff, v34
	ds_swizzle_b32 v34, v34 offset:swizzle(SWAP,1)
	s_waitcnt lgkmcnt(0)
	v_cndmask_b32_e32 v7, v34, v7, vcc_lo
	v_cndmask_b32_e32 v25, v25, v34, vcc_lo
	v_cndmask_b32_e64 v26, v26, v34, s84
	v_cmp_eq_u32_e64 s84, 1, v38
	v_cndmask_b32_e64 v27, v27, v34, s85
	v_cndmask_b32_e64 v28, v28, v34, s86
	v_cmp_eq_u32_e64 s85, 4, v38
	v_cndmask_b32_e64 v29, v29, v34, s87
	;; [unrolled: 3-line block ×3, first 2 shown]
	v_cmp_eq_u32_e64 s87, 6, v38
	v_cndmask_b32_e64 v31, v31, v34, s89
	v_cndmask_b32_e32 v39, v39, v26, vcc_lo
	v_cmp_eq_u32_e64 s88, 7, v38
	v_cndmask_b32_e64 v32, v32, v34, s93
	v_cmp_eq_u32_e64 s89, 8, v38
	v_cndmask_b32_e64 v33, v33, v34, s90
	v_cndmask_b32_e64 v39, v39, v27, s82
	v_cmp_eq_u32_e64 s90, 9, v38
	v_cndmask_b32_e64 v5, v5, v34, s94
	;; [unrolled: 3-line block ×4, first 2 shown]
	v_cmp_eq_u32_e64 s92, 12, v38
	v_cndmask_b32_e64 v39, v39, v29, s86
	v_cmp_eq_u32_e64 s93, 13, v38
	v_cndmask_b32_e64 v37, v37, v34, s95
	;; [unrolled: 2-line block ×3, first 2 shown]
	v_cndmask_b32_e64 v39, v39, v30, s87
	v_cmp_eq_u32_e64 s95, 15, v38
	s_delay_alu instid0(VALU_DEP_2) | instskip(NEXT) | instid1(VALU_DEP_1)
	v_cndmask_b32_e64 v39, v39, v31, s88
	v_cndmask_b32_e64 v39, v39, v32, s89
	s_delay_alu instid0(VALU_DEP_1) | instskip(NEXT) | instid1(VALU_DEP_1)
	v_cndmask_b32_e64 v39, v39, v33, s90
	v_cndmask_b32_e64 v39, v39, v5, s91
	s_delay_alu instid0(VALU_DEP_1) | instskip(NEXT) | instid1(VALU_DEP_1)
	;; [unrolled: 3-line block ×3, first 2 shown]
	v_cndmask_b32_e64 v39, v39, v36, s93
	v_cndmask_b32_e64 v34, v39, v37, s94
	;; [unrolled: 1-line block ×3, first 2 shown]
	s_delay_alu instid0(VALU_DEP_2) | instskip(NEXT) | instid1(VALU_DEP_2)
	v_cndmask_b32_e64 v34, v34, v6, s95
	v_cmp_eq_u32_e64 s96, 2, v39
	s_delay_alu instid0(VALU_DEP_2)
	v_and_b32_e32 v34, 0xff, v34
	ds_swizzle_b32 v34, v34 offset:swizzle(SWAP,1)
	s_waitcnt lgkmcnt(0)
	v_cndmask_b32_e64 v7, v7, v34, s84
	v_cmp_eq_u32_e64 s84, 0, v38
	v_cndmask_b32_e32 v26, v26, v34, vcc_lo
	v_cndmask_b32_e64 v27, v27, v34, s82
	v_cndmask_b32_e64 v28, v28, v34, s85
	v_cmp_eq_u32_e64 s85, 3, v39
	v_cndmask_b32_e64 v25, v25, v34, s84
	v_cmp_eq_u32_e64 s84, 1, v39
	v_cndmask_b32_e64 v29, v29, v34, s86
	v_cndmask_b32_e64 v30, v30, v34, s87
	v_cmp_eq_u32_e64 s86, 6, v39
	v_cndmask_b32_e64 v31, v31, v34, s88
	;; [unrolled: 3-line block ×3, first 2 shown]
	v_cmp_eq_u32_e64 s88, 8, v39
	v_cndmask_b32_e64 v33, v33, v34, s90
	v_cndmask_b32_e64 v38, v38, v26, s96
	v_cmp_eq_u32_e64 s89, 9, v39
	v_cndmask_b32_e64 v5, v5, v34, s91
	v_cndmask_b32_e64 v4, v4, v34, s83
	v_cmp_eq_u32_e64 s83, 10, v39
	v_cndmask_b32_e64 v38, v38, v27, s85
	v_cmp_eq_u32_e64 s90, 11, v39
	;; [unrolled: 2-line block ×3, first 2 shown]
	v_cndmask_b32_e64 v36, v36, v34, s93
	v_cndmask_b32_e32 v38, v38, v28, vcc_lo
	v_cmp_eq_u32_e64 s92, 13, v39
	v_cndmask_b32_e64 v37, v37, v34, s94
	v_cmp_eq_u32_e64 s93, 14, v39
	v_cndmask_b32_e64 v6, v6, v34, s95
	v_cndmask_b32_e64 v38, v38, v29, s82
	v_cmp_eq_u32_e64 s94, 15, v39
	s_delay_alu instid0(VALU_DEP_2) | instskip(NEXT) | instid1(VALU_DEP_1)
	v_cndmask_b32_e64 v38, v38, v30, s86
	v_cndmask_b32_e64 v38, v38, v31, s87
	s_delay_alu instid0(VALU_DEP_1) | instskip(NEXT) | instid1(VALU_DEP_1)
	v_cndmask_b32_e64 v38, v38, v32, s88
	v_cndmask_b32_e64 v38, v38, v33, s89
	s_delay_alu instid0(VALU_DEP_1) | instskip(NEXT) | instid1(VALU_DEP_1)
	;; [unrolled: 3-line block ×3, first 2 shown]
	v_cndmask_b32_e64 v38, v38, v35, s91
	v_cndmask_b32_e64 v38, v38, v36, s92
	s_delay_alu instid0(VALU_DEP_1) | instskip(SKIP_1) | instid1(VALU_DEP_2)
	v_cndmask_b32_e64 v34, v38, v37, s93
	v_cndmask_b32_e64 v38, 6, 7, s82
	;; [unrolled: 1-line block ×3, first 2 shown]
	s_delay_alu instid0(VALU_DEP_2) | instskip(NEXT) | instid1(VALU_DEP_2)
	v_cmp_eq_u32_e64 s95, 3, v38
	v_and_b32_e32 v34, 0xff, v34
	ds_swizzle_b32 v34, v34 offset:swizzle(SWAP,1)
	s_waitcnt lgkmcnt(0)
	v_cndmask_b32_e64 v7, v7, v34, s84
	v_cmp_eq_u32_e64 s84, 0, v39
	v_cndmask_b32_e64 v26, v26, v34, s96
	v_cndmask_b32_e64 v27, v27, v34, s85
	v_cmp_eq_u32_e64 s85, 2, v38
	v_cndmask_b32_e32 v28, v28, v34, vcc_lo
	v_cndmask_b32_e64 v25, v25, v34, s84
	v_cmp_eq_u32_e64 s84, 1, v38
	v_cmp_eq_u32_e64 s96, 4, v38
	v_cndmask_b32_e64 v29, v29, v34, s82
	v_cndmask_b32_e64 v30, v30, v34, s86
	v_cmp_eq_u32_e64 s86, 5, v38
	v_cndmask_b32_e64 v39, v25, v7, s84
	v_cndmask_b32_e64 v31, v31, v34, s87
	;; [unrolled: 1-line block ×3, first 2 shown]
	v_cmp_eq_u32_e64 s87, 8, v38
	v_cndmask_b32_e64 v33, v33, v34, s89
	v_cndmask_b32_e64 v39, v39, v26, s85
	v_cndmask_b32_e64 v5, v5, v34, s83
	v_cmp_eq_u32_e64 s83, 9, v38
	v_cmp_eq_u32_e64 s88, 10, v38
	v_cndmask_b32_e64 v4, v4, v34, s90
	v_cndmask_b32_e64 v39, v39, v27, s95
	v_cmp_eq_u32_e64 s89, 11, v38
	v_cndmask_b32_e64 v35, v35, v34, s91
	v_cmp_eq_u32_e64 s90, 12, v38
	v_cndmask_b32_e64 v36, v36, v34, s92
	v_cndmask_b32_e64 v39, v39, v28, s96
	v_cmp_eq_u32_e64 s91, 13, v38
	v_cndmask_b32_e64 v37, v37, v34, s93
	v_cmp_eq_u32_e64 s92, 14, v38
	v_cndmask_b32_e64 v6, v6, v34, s94
	v_cndmask_b32_e64 v39, v39, v29, s86
	v_cmp_eq_u32_e64 s93, 15, v38
	s_delay_alu instid0(VALU_DEP_2) | instskip(NEXT) | instid1(VALU_DEP_1)
	v_cndmask_b32_e32 v39, v39, v30, vcc_lo
	v_cndmask_b32_e64 v39, v39, v31, s82
	s_delay_alu instid0(VALU_DEP_1) | instskip(NEXT) | instid1(VALU_DEP_1)
	v_cndmask_b32_e64 v39, v39, v32, s87
	v_cndmask_b32_e64 v39, v39, v33, s83
	s_delay_alu instid0(VALU_DEP_1) | instskip(NEXT) | instid1(VALU_DEP_1)
	v_cndmask_b32_e64 v39, v39, v5, s88
	;; [unrolled: 3-line block ×3, first 2 shown]
	v_cndmask_b32_e64 v39, v39, v36, s91
	s_delay_alu instid0(VALU_DEP_1) | instskip(SKIP_1) | instid1(VALU_DEP_2)
	v_cndmask_b32_e64 v34, v39, v37, s92
	v_cndmask_b32_e64 v39, 8, 9, s82
	;; [unrolled: 1-line block ×3, first 2 shown]
	s_delay_alu instid0(VALU_DEP_2) | instskip(NEXT) | instid1(VALU_DEP_2)
	v_cmp_eq_u32_e64 s94, 3, v39
	v_and_b32_e32 v34, 0xff, v34
	ds_swizzle_b32 v34, v34 offset:swizzle(SWAP,1)
	s_waitcnt lgkmcnt(0)
	v_cndmask_b32_e64 v7, v7, v34, s84
	v_cmp_eq_u32_e64 s84, 0, v38
	v_cndmask_b32_e64 v26, v26, v34, s85
	v_cmp_eq_u32_e64 s85, 2, v39
	v_cndmask_b32_e64 v27, v27, v34, s95
	v_cndmask_b32_e64 v28, v28, v34, s96
	;; [unrolled: 1-line block ×3, first 2 shown]
	v_cmp_eq_u32_e64 s84, 1, v39
	v_cndmask_b32_e64 v29, v29, v34, s86
	v_cmp_eq_u32_e64 s86, 4, v39
	v_cmp_eq_u32_e64 s95, 5, v39
	v_cndmask_b32_e32 v30, v30, v34, vcc_lo
	v_cndmask_b32_e64 v38, v25, v7, s84
	v_cmp_eq_u32_e64 s96, 6, v39
	v_cndmask_b32_e64 v31, v31, v34, s82
	v_cndmask_b32_e64 v32, v32, v34, s87
	v_cmp_eq_u32_e64 s87, 7, v39
	v_cndmask_b32_e64 v38, v38, v26, s85
	v_cndmask_b32_e64 v33, v33, v34, s83
	;; [unrolled: 1-line block ×3, first 2 shown]
	v_cmp_eq_u32_e64 s83, 10, v39
	v_cndmask_b32_e64 v4, v4, v34, s89
	v_cndmask_b32_e64 v38, v38, v27, s94
	v_cmp_eq_u32_e64 s88, 11, v39
	v_cndmask_b32_e64 v35, v35, v34, s90
	v_cmp_eq_u32_e64 s89, 12, v39
	v_cndmask_b32_e64 v36, v36, v34, s91
	v_cndmask_b32_e64 v38, v38, v28, s86
	v_cmp_eq_u32_e64 s90, 13, v39
	v_cndmask_b32_e64 v37, v37, v34, s92
	v_cmp_eq_u32_e64 s91, 14, v39
	v_cndmask_b32_e64 v6, v6, v34, s93
	v_cndmask_b32_e64 v38, v38, v29, s95
	v_cmp_eq_u32_e64 s92, 15, v39
	s_delay_alu instid0(VALU_DEP_2) | instskip(NEXT) | instid1(VALU_DEP_1)
	v_cndmask_b32_e64 v38, v38, v30, s96
	v_cndmask_b32_e64 v38, v38, v31, s87
	s_delay_alu instid0(VALU_DEP_1) | instskip(NEXT) | instid1(VALU_DEP_1)
	v_cndmask_b32_e32 v38, v38, v32, vcc_lo
	v_cndmask_b32_e64 v38, v38, v33, s82
	s_delay_alu instid0(VALU_DEP_1) | instskip(NEXT) | instid1(VALU_DEP_1)
	v_cndmask_b32_e64 v38, v38, v5, s83
	v_cndmask_b32_e64 v38, v38, v4, s88
	s_delay_alu instid0(VALU_DEP_1) | instskip(NEXT) | instid1(VALU_DEP_1)
	v_cndmask_b32_e64 v38, v38, v35, s89
	v_cndmask_b32_e64 v38, v38, v36, s90
	s_delay_alu instid0(VALU_DEP_1) | instskip(SKIP_1) | instid1(VALU_DEP_2)
	v_cndmask_b32_e64 v34, v38, v37, s91
	v_cndmask_b32_e64 v38, 10, 11, s82
	;; [unrolled: 1-line block ×3, first 2 shown]
	s_delay_alu instid0(VALU_DEP_2) | instskip(NEXT) | instid1(VALU_DEP_2)
	v_cmp_eq_u32_e64 s93, 4, v38
	v_and_b32_e32 v34, 0xff, v34
	ds_swizzle_b32 v34, v34 offset:swizzle(SWAP,1)
	s_waitcnt lgkmcnt(0)
	v_cndmask_b32_e64 v7, v7, v34, s84
	v_cmp_eq_u32_e64 s84, 0, v39
	v_cndmask_b32_e64 v26, v26, v34, s85
	v_cmp_eq_u32_e64 s85, 2, v38
	v_cndmask_b32_e64 v27, v27, v34, s94
	v_cndmask_b32_e64 v28, v28, v34, s86
	v_cndmask_b32_e64 v25, v25, v34, s84
	v_cmp_eq_u32_e64 s84, 1, v38
	v_cmp_eq_u32_e64 s86, 3, v38
	v_cndmask_b32_e64 v29, v29, v34, s95
	v_cmp_eq_u32_e64 s94, 5, v38
	v_cndmask_b32_e64 v30, v30, v34, s96
	v_cndmask_b32_e64 v39, v25, v7, s84
	;; [unrolled: 1-line block ×3, first 2 shown]
	v_cmp_eq_u32_e64 s87, 6, v38
	v_cmp_eq_u32_e64 s95, 7, v38
	v_cndmask_b32_e32 v32, v32, v34, vcc_lo
	v_cndmask_b32_e64 v39, v39, v26, s85
	v_cmp_eq_u32_e64 s96, 8, v38
	v_cndmask_b32_e64 v33, v33, v34, s82
	v_cndmask_b32_e64 v5, v5, v34, s83
	v_cmp_eq_u32_e64 s83, 9, v38
	v_cndmask_b32_e64 v39, v39, v27, s86
	v_cndmask_b32_e64 v4, v4, v34, s88
	;; [unrolled: 1-line block ×3, first 2 shown]
	v_cmp_eq_u32_e64 s88, 12, v38
	v_cndmask_b32_e64 v36, v36, v34, s90
	v_cndmask_b32_e64 v39, v39, v28, s93
	v_cmp_eq_u32_e64 s89, 13, v38
	v_cndmask_b32_e64 v37, v37, v34, s91
	v_cmp_eq_u32_e64 s90, 14, v38
	v_cndmask_b32_e64 v6, v6, v34, s92
	v_cndmask_b32_e64 v39, v39, v29, s94
	v_cmp_eq_u32_e64 s91, 15, v38
	s_delay_alu instid0(VALU_DEP_2) | instskip(NEXT) | instid1(VALU_DEP_1)
	v_cndmask_b32_e64 v39, v39, v30, s87
	v_cndmask_b32_e64 v39, v39, v31, s95
	s_delay_alu instid0(VALU_DEP_1) | instskip(NEXT) | instid1(VALU_DEP_1)
	v_cndmask_b32_e64 v39, v39, v32, s96
	v_cndmask_b32_e64 v39, v39, v33, s83
	s_delay_alu instid0(VALU_DEP_1) | instskip(NEXT) | instid1(VALU_DEP_1)
	v_cndmask_b32_e32 v39, v39, v5, vcc_lo
	v_cndmask_b32_e64 v39, v39, v4, s82
	s_delay_alu instid0(VALU_DEP_1) | instskip(NEXT) | instid1(VALU_DEP_1)
	v_cndmask_b32_e64 v39, v39, v35, s88
	v_cndmask_b32_e64 v39, v39, v36, s89
	s_delay_alu instid0(VALU_DEP_1) | instskip(SKIP_1) | instid1(VALU_DEP_2)
	v_cndmask_b32_e64 v34, v39, v37, s90
	v_cndmask_b32_e64 v39, 12, 13, s82
	v_cndmask_b32_e64 v34, v34, v6, s91
	s_delay_alu instid0(VALU_DEP_2) | instskip(NEXT) | instid1(VALU_DEP_2)
	v_cmp_eq_u32_e64 s92, 4, v39
	v_and_b32_e32 v34, 0xff, v34
	ds_swizzle_b32 v34, v34 offset:swizzle(SWAP,1)
	s_waitcnt lgkmcnt(0)
	v_cndmask_b32_e64 v7, v7, v34, s84
	v_cmp_eq_u32_e64 s84, 0, v38
	v_cndmask_b32_e64 v26, v26, v34, s85
	v_cmp_eq_u32_e64 s85, 2, v39
	v_cndmask_b32_e64 v27, v27, v34, s86
	v_cmp_eq_u32_e64 s86, 3, v39
	v_cndmask_b32_e64 v25, v25, v34, s84
	v_cmp_eq_u32_e64 s84, 1, v39
	v_cndmask_b32_e64 v28, v28, v34, s93
	v_cndmask_b32_e64 v29, v29, v34, s94
	;; [unrolled: 1-line block ×3, first 2 shown]
	v_cmp_eq_u32_e64 s87, 5, v39
	v_cndmask_b32_e64 v38, v25, v7, s84
	v_cmp_eq_u32_e64 s93, 6, v39
	v_cndmask_b32_e64 v31, v31, v34, s95
	;; [unrolled: 2-line block ×3, first 2 shown]
	v_cndmask_b32_e64 v38, v38, v26, s85
	v_cndmask_b32_e64 v33, v33, v34, s83
	v_cmp_eq_u32_e64 s83, 8, v39
	v_cmp_eq_u32_e64 s95, 9, v39
	v_cndmask_b32_e32 v5, v5, v34, vcc_lo
	v_cndmask_b32_e64 v38, v38, v27, s86
	v_cmp_eq_u32_e64 s96, 10, v39
	v_cndmask_b32_e64 v4, v4, v34, s82
	v_cndmask_b32_e64 v35, v35, v34, s88
	v_cmp_eq_u32_e64 s88, 11, v39
	v_cndmask_b32_e64 v38, v38, v28, s92
	v_cndmask_b32_e64 v36, v36, v34, s89
	;; [unrolled: 1-line block ×3, first 2 shown]
	v_cmp_eq_u32_e64 s89, 14, v39
	v_cndmask_b32_e64 v6, v6, v34, s91
	v_cndmask_b32_e64 v38, v38, v29, s87
	v_cmp_eq_u32_e64 s90, 15, v39
	s_delay_alu instid0(VALU_DEP_2) | instskip(NEXT) | instid1(VALU_DEP_1)
	v_cndmask_b32_e64 v38, v38, v30, s93
	v_cndmask_b32_e64 v38, v38, v31, s94
	s_delay_alu instid0(VALU_DEP_1) | instskip(NEXT) | instid1(VALU_DEP_1)
	v_cndmask_b32_e64 v38, v38, v32, s83
	v_cndmask_b32_e64 v38, v38, v33, s95
	s_delay_alu instid0(VALU_DEP_1) | instskip(NEXT) | instid1(VALU_DEP_1)
	;; [unrolled: 3-line block ×3, first 2 shown]
	v_cndmask_b32_e32 v38, v38, v35, vcc_lo
	v_cndmask_b32_e64 v38, v38, v36, s82
	s_delay_alu instid0(VALU_DEP_1) | instskip(SKIP_1) | instid1(VALU_DEP_2)
	v_cndmask_b32_e64 v34, v38, v37, s89
	v_cndmask_b32_e64 v38, 14, 15, s82
	;; [unrolled: 1-line block ×3, first 2 shown]
	s_delay_alu instid0(VALU_DEP_2) | instskip(NEXT) | instid1(VALU_DEP_2)
	v_cmp_eq_u32_e64 s91, 5, v38
	v_and_b32_e32 v34, 0xff, v34
	ds_swizzle_b32 v34, v34 offset:swizzle(SWAP,1)
	s_waitcnt lgkmcnt(0)
	v_cndmask_b32_e64 v7, v7, v34, s84
	v_cmp_eq_u32_e64 s84, 0, v39
	v_cndmask_b32_e64 v26, v26, v34, s85
	v_cmp_eq_u32_e64 s85, 2, v38
	;; [unrolled: 2-line block ×4, first 2 shown]
	v_cndmask_b32_e64 v28, v28, v34, s92
	v_cndmask_b32_e64 v29, v29, v34, s87
	v_cmp_eq_u32_e64 s87, 4, v38
	v_cndmask_b32_e64 v30, v30, v34, s93
	v_cndmask_b32_e64 v39, v25, v7, s84
	v_cmp_eq_u32_e64 s92, 6, v38
	;; [unrolled: 3-line block ×3, first 2 shown]
	v_cndmask_b32_e64 v39, v39, v26, s85
	v_cmp_eq_u32_e64 s93, 8, v38
	v_cndmask_b32_e64 v33, v33, v34, s95
	v_cmp_eq_u32_e64 s94, 9, v38
	v_cndmask_b32_e64 v5, v5, v34, s96
	v_cndmask_b32_e64 v39, v39, v27, s86
	;; [unrolled: 1-line block ×3, first 2 shown]
	v_cmp_eq_u32_e64 s88, 10, v38
	v_cmp_eq_u32_e64 s95, 11, v38
	v_cndmask_b32_e32 v35, v35, v34, vcc_lo
	v_cndmask_b32_e64 v39, v39, v28, s87
	v_cmp_eq_u32_e64 s96, 12, v38
	v_cndmask_b32_e64 v36, v36, v34, s82
	v_cndmask_b32_e64 v37, v37, v34, s89
	v_cmp_eq_u32_e64 s89, 13, v38
	v_cndmask_b32_e64 v39, v39, v29, s91
	v_cndmask_b32_e64 v6, v6, v34, s90
	s_delay_alu instid0(VALU_DEP_2) | instskip(NEXT) | instid1(VALU_DEP_1)
	v_cndmask_b32_e64 v39, v39, v30, s92
	v_cndmask_b32_e64 v39, v39, v31, s83
	s_delay_alu instid0(VALU_DEP_1) | instskip(NEXT) | instid1(VALU_DEP_1)
	v_cndmask_b32_e64 v39, v39, v32, s93
	v_cndmask_b32_e64 v39, v39, v33, s94
	s_delay_alu instid0(VALU_DEP_1) | instskip(NEXT) | instid1(VALU_DEP_1)
	;; [unrolled: 3-line block ×4, first 2 shown]
	v_cndmask_b32_e32 v34, v39, v37, vcc_lo
	v_cndmask_b32_e64 v34, v34, v6, s82
	s_delay_alu instid0(VALU_DEP_1)
	v_and_b32_e32 v34, 0xff, v34
	ds_swizzle_b32 v34, v34 offset:swizzle(SWAP,1)
	s_waitcnt lgkmcnt(0)
	v_cndmask_b32_e32 v37, v37, v34, vcc_lo
	v_cmp_eq_u32_e32 vcc_lo, 0, v38
	v_cndmask_b32_e64 v36, v36, v34, s89
	v_cndmask_b32_e64 v35, v35, v34, s96
	;; [unrolled: 1-line block ×12, first 2 shown]
	v_cndmask_b32_e32 v25, v25, v34, vcc_lo
	v_cndmask_b32_e64 v27, v27, v34, s86
	v_cndmask_b32_e64 v26, v26, v34, s85
	v_lshlrev_b16 v34, 8, v36
	v_and_b32_e32 v35, 0xff, v35
	v_lshlrev_b16 v6, 8, v6
	v_and_b32_e32 v36, 0xff, v37
	;; [unrolled: 2-line block ×8, first 2 shown]
	v_or_b32_e32 v34, v35, v34
	v_or_b32_e32 v6, v36, v6
	;; [unrolled: 1-line block ×8, first 2 shown]
	v_and_b32_e32 v26, 0xffff, v34
	v_lshlrev_b32_e32 v6, 16, v6
	v_and_b32_e32 v27, 0xffff, v32
	v_lshlrev_b32_e32 v4, 16, v4
	v_lshlrev_b32_e32 v25, 16, v25
	v_and_b32_e32 v5, 0xffff, v5
	v_lshlrev_b32_e32 v28, 16, v28
	v_and_b32_e32 v29, 0xffff, v7
	v_or_b32_e32 v7, v26, v6
	v_or_b32_e32 v6, v27, v4
	s_delay_alu instid0(VALU_DEP_4) | instskip(NEXT) | instid1(VALU_DEP_4)
	v_or_b32_e32 v5, v5, v28
	v_or_b32_e32 v4, v29, v25
	s_cbranch_execz .LBB39_3
	s_branch .LBB39_4
.LBB39_2:
                                        ; implicit-def: $vgpr4_vgpr5_vgpr6_vgpr7
	s_and_not1_b32 vcc_lo, exec_lo, s82
	s_cbranch_vccnz .LBB39_4
.LBB39_3:
	ds_swizzle_b32 v6, v24 offset:swizzle(SWAP,8)
	v_lshrrev_b64 v[4:5], 24, v[0:1]
	v_cmp_eq_u32_e32 vcc_lo, 1, v13
	s_waitcnt lgkmcnt(0)
	v_cndmask_b32_e64 v7, v15, v6, s68
	v_cndmask_b32_e64 v15, v0, v6, s66
	;; [unrolled: 1-line block ×12, first 2 shown]
	s_delay_alu instid0(VALU_DEP_1) | instskip(NEXT) | instid1(VALU_DEP_1)
	v_cndmask_b32_e64 v0, v0, v4, s33
	v_cndmask_b32_e64 v0, v0, v14, s29
	s_delay_alu instid0(VALU_DEP_1) | instskip(NEXT) | instid1(VALU_DEP_1)
	v_cndmask_b32_e64 v0, v0, v16, s26
	v_cndmask_b32_e64 v0, v0, v17, s25
	;; [unrolled: 3-line block ×3, first 2 shown]
	v_lshrrev_b64 v[0:1], 24, v[2:3]
	v_cndmask_b32_e64 v1, v20, v6, s76
	v_cndmask_b32_e64 v3, v3, v6, s78
	;; [unrolled: 1-line block ×7, first 2 shown]
	s_delay_alu instid0(VALU_DEP_4) | instskip(NEXT) | instid1(VALU_DEP_1)
	v_cndmask_b32_e64 v2, v2, v1, s21
	v_cndmask_b32_e64 v2, v2, v0, s20
	s_delay_alu instid0(VALU_DEP_1) | instskip(NEXT) | instid1(VALU_DEP_1)
	v_cndmask_b32_e64 v2, v2, v3, s19
	v_cndmask_b32_e64 v2, v2, v20, s18
	s_delay_alu instid0(VALU_DEP_1) | instskip(NEXT) | instid1(VALU_DEP_1)
	v_cndmask_b32_e64 v2, v2, v21, s16
	v_cndmask_b32_e64 v2, v2, v6, s14
	s_delay_alu instid0(VALU_DEP_1)
	v_and_b32_e32 v2, 0xff, v2
	ds_swizzle_b32 v2, v2 offset:swizzle(SWAP,8)
	s_waitcnt lgkmcnt(0)
	v_cndmask_b32_e64 v7, v7, v2, s43
	v_cndmask_b32_e64 v15, v15, v2, s55
	;; [unrolled: 1-line block ×19, first 2 shown]
	v_cmp_eq_u32_e64 s14, 15, v13
	s_delay_alu instid0(VALU_DEP_4) | instskip(NEXT) | instid1(VALU_DEP_1)
	v_cndmask_b32_e64 v22, v22, v14, s60
	v_cndmask_b32_e64 v22, v22, v16, s59
	s_delay_alu instid0(VALU_DEP_1) | instskip(NEXT) | instid1(VALU_DEP_1)
	v_cndmask_b32_e64 v22, v22, v17, s58
	v_cndmask_b32_e64 v22, v22, v18, s56
	s_delay_alu instid0(VALU_DEP_1) | instskip(NEXT) | instid1(VALU_DEP_1)
	;; [unrolled: 3-line block ×5, first 2 shown]
	v_cndmask_b32_e64 v6, v22, v21, s50
	v_cndmask_b32_e64 v6, v6, v2, s54
	s_delay_alu instid0(VALU_DEP_1)
	v_and_b32_e32 v6, 0xff, v6
	ds_swizzle_b32 v6, v6 offset:swizzle(SWAP,8)
	s_waitcnt lgkmcnt(0)
	v_cndmask_b32_e64 v7, v7, v6, s63
	v_cndmask_b32_e64 v15, v15, v6, s65
	;; [unrolled: 1-line block ×19, first 2 shown]
	s_delay_alu instid0(VALU_DEP_3) | instskip(NEXT) | instid1(VALU_DEP_1)
	v_cndmask_b32_e64 v22, v22, v14, s34
	v_cndmask_b32_e64 v22, v22, v16, s31
	s_delay_alu instid0(VALU_DEP_1) | instskip(NEXT) | instid1(VALU_DEP_1)
	v_cndmask_b32_e64 v22, v22, v17, s39
	v_cndmask_b32_e64 v22, v22, v18, s35
	s_delay_alu instid0(VALU_DEP_1) | instskip(NEXT) | instid1(VALU_DEP_1)
	;; [unrolled: 3-line block ×5, first 2 shown]
	v_cndmask_b32_e64 v6, v22, v21, s42
	v_cndmask_b32_e64 v6, v6, v2, s46
	s_delay_alu instid0(VALU_DEP_1)
	v_and_b32_e32 v6, 0xff, v6
	ds_swizzle_b32 v6, v6 offset:swizzle(SWAP,8)
	s_waitcnt lgkmcnt(0)
	v_cndmask_b32_e64 v7, v7, v6, s27
	v_cndmask_b32_e64 v15, v15, v6, s64
	;; [unrolled: 1-line block ×19, first 2 shown]
	s_delay_alu instid0(VALU_DEP_3) | instskip(NEXT) | instid1(VALU_DEP_1)
	v_cndmask_b32_e64 v22, v22, v14, s13
	v_cndmask_b32_e64 v22, v22, v16, s9
	s_delay_alu instid0(VALU_DEP_1) | instskip(NEXT) | instid1(VALU_DEP_1)
	v_cndmask_b32_e64 v22, v22, v17, s11
	v_cndmask_b32_e64 v22, v22, v18, s7
	s_delay_alu instid0(VALU_DEP_1) | instskip(NEXT) | instid1(VALU_DEP_1)
	;; [unrolled: 3-line block ×5, first 2 shown]
	v_cndmask_b32_e64 v6, v22, v21, s2
	v_cndmask_b32_e64 v6, v6, v2, s1
	s_delay_alu instid0(VALU_DEP_1)
	v_and_b32_e32 v6, 0xff, v6
	ds_swizzle_b32 v6, v6 offset:swizzle(SWAP,8)
	s_waitcnt lgkmcnt(0)
	v_cndmask_b32_e64 v7, v7, v6, s17
	v_cndmask_b32_e64 v15, v15, v6, s57
	;; [unrolled: 1-line block ×4, first 2 shown]
	v_cmp_eq_u32_e64 s12, 2, v13
	v_cndmask_b32_e64 v14, v14, v6, s13
	v_cndmask_b32_e32 v22, v15, v7, vcc_lo
	v_cmp_eq_u32_e64 s13, 3, v13
	v_cndmask_b32_e64 v16, v16, v6, s9
	v_cmp_eq_u32_e64 s9, 4, v13
	v_cndmask_b32_e64 v17, v17, v6, s11
	v_cndmask_b32_e64 v22, v22, v5, s12
	v_cmp_eq_u32_e64 s11, 5, v13
	v_cndmask_b32_e64 v18, v18, v6, s7
	v_cmp_eq_u32_e64 s7, 6, v13
	v_cndmask_b32_e64 v23, v23, v6, s10
	v_cndmask_b32_e64 v22, v22, v4, s13
	;; [unrolled: 5-line block ×5, first 2 shown]
	v_cmp_eq_u32_e64 s2, 13, v13
	v_cndmask_b32_e64 v2, v2, v6, s1
	v_cmp_eq_u32_e64 s1, 14, v13
	s_delay_alu instid0(VALU_DEP_4) | instskip(NEXT) | instid1(VALU_DEP_1)
	v_cndmask_b32_e64 v22, v22, v18, s10
	v_cndmask_b32_e64 v22, v22, v23, s6
	s_delay_alu instid0(VALU_DEP_1) | instskip(NEXT) | instid1(VALU_DEP_1)
	v_cndmask_b32_e64 v22, v22, v19, s8
	v_cndmask_b32_e64 v22, v22, v1, s5
	s_delay_alu instid0(VALU_DEP_1) | instskip(NEXT) | instid1(VALU_DEP_1)
	;; [unrolled: 3-line block ×4, first 2 shown]
	v_cndmask_b32_e64 v6, v6, v2, s14
	v_and_b32_e32 v6, 0xff, v6
	ds_swizzle_b32 v6, v6 offset:swizzle(SWAP,8)
	s_waitcnt lgkmcnt(0)
	v_cndmask_b32_e32 v7, v7, v6, vcc_lo
	v_cmp_eq_u32_e32 vcc_lo, 0, v13
	v_cndmask_b32_e64 v5, v5, v6, s12
	v_cmp_eq_u32_e64 s12, 2, v12
	v_cndmask_b32_e64 v4, v4, v6, s13
	v_cndmask_b32_e64 v14, v14, v6, s9
	v_cndmask_b32_e32 v13, v15, v6, vcc_lo
	v_cmp_eq_u32_e32 vcc_lo, 1, v12
	v_cmp_eq_u32_e64 s9, 3, v12
	v_cndmask_b32_e64 v16, v16, v6, s11
	v_cmp_eq_u32_e64 s11, 4, v12
	v_cndmask_b32_e64 v17, v17, v6, s7
	v_cndmask_b32_e32 v15, v13, v7, vcc_lo
	v_cmp_eq_u32_e64 s7, 5, v12
	v_cndmask_b32_e64 v18, v18, v6, s10
	v_cmp_eq_u32_e64 s10, 6, v12
	v_cndmask_b32_e64 v22, v23, v6, s6
	v_cndmask_b32_e64 v15, v15, v5, s12
	v_cmp_eq_u32_e64 s6, 7, v12
	v_cndmask_b32_e64 v19, v19, v6, s8
	v_cmp_eq_u32_e64 s8, 8, v12
	v_cndmask_b32_e64 v1, v1, v6, s5
	v_cndmask_b32_e64 v15, v15, v4, s9
	;; [unrolled: 5-line block ×4, first 2 shown]
	v_cmp_eq_u32_e64 s1, 13, v12
	v_cmp_eq_u32_e64 s13, 14, v12
	v_cndmask_b32_e64 v2, v2, v6, s14
	v_cmp_eq_u32_e64 s14, 15, v12
	v_cndmask_b32_e64 v15, v15, v17, s10
	s_delay_alu instid0(VALU_DEP_1) | instskip(NEXT) | instid1(VALU_DEP_1)
	v_cndmask_b32_e64 v15, v15, v18, s6
	v_cndmask_b32_e64 v15, v15, v22, s8
	s_delay_alu instid0(VALU_DEP_1) | instskip(NEXT) | instid1(VALU_DEP_1)
	v_cndmask_b32_e64 v15, v15, v19, s5
	;; [unrolled: 3-line block ×5, first 2 shown]
	v_and_b32_e32 v6, 0xff, v6
	ds_swizzle_b32 v6, v6 offset:swizzle(SWAP,8)
	s_waitcnt lgkmcnt(0)
	v_cndmask_b32_e32 v7, v7, v6, vcc_lo
	v_cmp_eq_u32_e32 vcc_lo, 0, v12
	v_cndmask_b32_e64 v5, v5, v6, s12
	v_cndmask_b32_e64 v4, v4, v6, s9
	v_cmp_eq_u32_e64 s9, 2, v11
	v_cndmask_b32_e64 v14, v14, v6, s11
	v_cndmask_b32_e32 v12, v13, v6, vcc_lo
	v_cmp_eq_u32_e32 vcc_lo, 1, v11
	v_cmp_eq_u32_e64 s11, 3, v11
	v_cndmask_b32_e64 v15, v16, v6, s7
	v_cmp_eq_u32_e64 s7, 4, v11
	v_cndmask_b32_e64 v16, v17, v6, s10
	v_cndmask_b32_e32 v13, v12, v7, vcc_lo
	v_cmp_eq_u32_e64 s10, 5, v11
	v_cndmask_b32_e64 v17, v18, v6, s6
	v_cmp_eq_u32_e64 s6, 6, v11
	v_cndmask_b32_e64 v18, v22, v6, s8
	v_cndmask_b32_e64 v13, v13, v5, s9
	v_cmp_eq_u32_e64 s8, 7, v11
	v_cndmask_b32_e64 v19, v19, v6, s5
	v_cmp_eq_u32_e64 s5, 8, v11
	v_cndmask_b32_e64 v1, v1, v6, s3
	v_cndmask_b32_e64 v13, v13, v4, s11
	;; [unrolled: 5-line block ×3, first 2 shown]
	v_cmp_eq_u32_e64 s2, 11, v11
	v_cndmask_b32_e64 v20, v20, v6, s1
	v_cmp_eq_u32_e64 s1, 12, v11
	v_cmp_eq_u32_e64 s12, 13, v11
	v_cndmask_b32_e64 v13, v13, v15, s10
	v_cndmask_b32_e64 v21, v21, v6, s13
	v_cmp_eq_u32_e64 s13, 14, v11
	v_cndmask_b32_e64 v2, v2, v6, s14
	v_cmp_eq_u32_e64 s14, 15, v11
	v_cndmask_b32_e64 v13, v13, v16, s6
	s_delay_alu instid0(VALU_DEP_1) | instskip(NEXT) | instid1(VALU_DEP_1)
	v_cndmask_b32_e64 v13, v13, v17, s8
	v_cndmask_b32_e64 v13, v13, v18, s5
	s_delay_alu instid0(VALU_DEP_1) | instskip(NEXT) | instid1(VALU_DEP_1)
	v_cndmask_b32_e64 v13, v13, v19, s3
	;; [unrolled: 3-line block ×4, first 2 shown]
	v_cndmask_b32_e64 v6, v13, v21, s13
	v_xor_b32_e32 v13, 4, v10
	s_delay_alu instid0(VALU_DEP_2) | instskip(NEXT) | instid1(VALU_DEP_1)
	v_cndmask_b32_e64 v6, v6, v2, s14
	v_and_b32_e32 v6, 0xff, v6
	ds_swizzle_b32 v6, v6 offset:swizzle(SWAP,8)
	s_waitcnt lgkmcnt(0)
	v_cndmask_b32_e32 v7, v7, v6, vcc_lo
	v_cmp_eq_u32_e32 vcc_lo, 0, v11
	v_cndmask_b32_e64 v5, v5, v6, s9
	v_cmp_eq_u32_e64 s9, 2, v13
	v_cndmask_b32_e64 v4, v4, v6, s11
	v_cndmask_b32_e64 v14, v14, v6, s7
	v_cndmask_b32_e32 v11, v12, v6, vcc_lo
	v_cmp_eq_u32_e32 vcc_lo, 1, v13
	v_cmp_eq_u32_e64 s7, 3, v13
	v_cndmask_b32_e64 v15, v15, v6, s10
	v_cmp_eq_u32_e64 s10, 4, v13
	v_cndmask_b32_e64 v16, v16, v6, s6
	v_cndmask_b32_e32 v12, v11, v7, vcc_lo
	v_cmp_eq_u32_e64 s6, 5, v13
	v_cndmask_b32_e64 v17, v17, v6, s8
	v_cmp_eq_u32_e64 s8, 6, v13
	v_cndmask_b32_e64 v18, v18, v6, s5
	v_cndmask_b32_e64 v12, v12, v5, s9
	v_cmp_eq_u32_e64 s5, 7, v13
	v_cndmask_b32_e64 v19, v19, v6, s3
	v_cmp_eq_u32_e64 s3, 8, v13
	v_cndmask_b32_e64 v1, v1, v6, s4
	v_cndmask_b32_e64 v12, v12, v4, s7
	v_cmp_eq_u32_e64 s4, 9, v13
	v_cndmask_b32_e64 v0, v0, v6, s2
	v_cmp_eq_u32_e64 s2, 10, v13
	v_cndmask_b32_e64 v3, v3, v6, s1
	v_cndmask_b32_e64 v12, v12, v14, s10
	v_cmp_eq_u32_e64 s1, 11, v13
	v_cmp_eq_u32_e64 s11, 12, v13
	v_cndmask_b32_e64 v20, v20, v6, s12
	v_cmp_eq_u32_e64 s12, 13, v13
	v_cndmask_b32_e64 v12, v12, v15, s6
	v_cndmask_b32_e64 v21, v21, v6, s13
	v_cmp_eq_u32_e64 s13, 14, v13
	v_cndmask_b32_e64 v2, v2, v6, s14
	v_cmp_eq_u32_e64 s14, 15, v13
	v_cndmask_b32_e64 v12, v12, v16, s8
	s_delay_alu instid0(VALU_DEP_1) | instskip(NEXT) | instid1(VALU_DEP_1)
	v_cndmask_b32_e64 v12, v12, v17, s5
	v_cndmask_b32_e64 v12, v12, v18, s3
	s_delay_alu instid0(VALU_DEP_1) | instskip(NEXT) | instid1(VALU_DEP_1)
	v_cndmask_b32_e64 v12, v12, v19, s4
	;; [unrolled: 3-line block ×5, first 2 shown]
	v_and_b32_e32 v6, 0xff, v6
	ds_swizzle_b32 v6, v6 offset:swizzle(SWAP,4)
	s_waitcnt lgkmcnt(0)
	v_cndmask_b32_e32 v7, v7, v6, vcc_lo
	v_cmp_eq_u32_e32 vcc_lo, 0, v13
	v_cndmask_b32_e64 v5, v5, v6, s9
	v_cndmask_b32_e64 v4, v4, v6, s7
	;; [unrolled: 1-line block ×4, first 2 shown]
	v_cndmask_b32_e32 v11, v11, v6, vcc_lo
	v_cmp_eq_u32_e32 vcc_lo, 0, v10
	v_cndmask_b32_e64 v15, v16, v6, s8
	v_cndmask_b32_e64 v16, v17, v6, s5
	;; [unrolled: 1-line block ×4, first 2 shown]
	v_cndmask_b32_e64 v10, 1, 5, vcc_lo
	v_cndmask_b32_e64 v18, v19, v6, s4
	v_cndmask_b32_e64 v1, v1, v6, s2
	;; [unrolled: 1-line block ×4, first 2 shown]
	v_cmp_eq_u32_e64 s7, 2, v10
	v_cmp_eq_u32_e64 s9, 3, v10
	;; [unrolled: 1-line block ×5, first 2 shown]
	v_cndmask_b32_e64 v12, v12, v5, s7
	v_cmp_eq_u32_e64 s4, 8, v10
	v_cmp_eq_u32_e64 s2, 9, v10
	;; [unrolled: 1-line block ×4, first 2 shown]
	v_cndmask_b32_e64 v12, v12, v4, s9
	v_cmp_eq_u32_e64 s10, 12, v10
	v_cndmask_b32_e64 v19, v20, v6, s12
	v_cmp_eq_u32_e64 s11, 13, v10
	v_cndmask_b32_e64 v20, v21, v6, s13
	v_cndmask_b32_e64 v12, v12, v13, s6
	v_cmp_eq_u32_e64 s12, 14, v10
	v_cndmask_b32_e64 v2, v2, v6, s14
	v_cmp_eq_u32_e64 s13, 15, v10
	v_cmp_eq_u32_e64 s14, 0, v10
	v_cndmask_b32_e32 v12, v12, v14, vcc_lo
	s_delay_alu instid0(VALU_DEP_1) | instskip(NEXT) | instid1(VALU_DEP_1)
	v_cndmask_b32_e64 v12, v12, v15, s5
	v_cndmask_b32_e64 v12, v12, v16, s3
	s_delay_alu instid0(VALU_DEP_1) | instskip(NEXT) | instid1(VALU_DEP_1)
	v_cndmask_b32_e64 v12, v12, v17, s4
	v_cndmask_b32_e64 v12, v12, v18, s2
	;; [unrolled: 3-line block ×4, first 2 shown]
	s_delay_alu instid0(VALU_DEP_1) | instskip(SKIP_1) | instid1(VALU_DEP_2)
	v_cndmask_b32_e64 v6, v12, v20, s12
	v_cndmask_b32_e64 v12, 2, 6, vcc_lo
	v_cndmask_b32_e64 v6, v6, v2, s13
	s_delay_alu instid0(VALU_DEP_1)
	v_and_b32_e32 v6, 0xff, v6
	ds_swizzle_b32 v6, v6 offset:swizzle(SWAP,4)
	s_waitcnt lgkmcnt(0)
	v_cndmask_b32_e64 v7, v7, v6, s0
	v_cndmask_b32_e64 v10, v11, v6, s14
	;; [unrolled: 1-line block ×3, first 2 shown]
	v_cmp_eq_u32_e64 s7, 1, v12
	v_cndmask_b32_e64 v4, v4, v6, s9
	v_cndmask_b32_e64 v13, v13, v6, s6
	v_cmp_eq_u32_e64 s6, 3, v12
	v_cmp_eq_u32_e64 s9, 4, v12
	v_cndmask_b32_e64 v11, v10, v7, s7
	v_cndmask_b32_e32 v14, v14, v6, vcc_lo
	v_cndmask_b32_e64 v15, v15, v6, s5
	v_cmp_eq_u32_e64 s5, 5, v12
	v_cndmask_b32_e64 v16, v16, v6, s3
	v_cndmask_b32_e64 v11, v11, v5, s0
	v_cmp_eq_u32_e64 s3, 7, v12
	v_cndmask_b32_e64 v17, v17, v6, s4
	;; [unrolled: 3-line block ×3, first 2 shown]
	v_cndmask_b32_e64 v1, v1, v6, s1
	v_cmp_eq_u32_e64 s1, 9, v12
	v_cmp_eq_u32_e64 s4, 10, v12
	v_cndmask_b32_e64 v0, v0, v6, s8
	v_cndmask_b32_e64 v11, v11, v13, s9
	v_cmp_eq_u32_e64 s8, 11, v12
	v_cndmask_b32_e64 v3, v3, v6, s10
	v_cmp_eq_u32_e64 s10, 12, v12
	v_cndmask_b32_e64 v19, v19, v6, s11
	v_cndmask_b32_e64 v11, v11, v14, s5
	v_cmp_eq_u32_e64 s11, 13, v12
	v_cndmask_b32_e64 v20, v20, v6, s12
	v_cmp_eq_u32_e64 s12, 14, v12
	v_cndmask_b32_e64 v2, v2, v6, s13
	v_cndmask_b32_e32 v11, v11, v15, vcc_lo
	v_cmp_eq_u32_e64 s13, 15, v12
	s_delay_alu instid0(VALU_DEP_2) | instskip(NEXT) | instid1(VALU_DEP_1)
	v_cndmask_b32_e64 v11, v11, v16, s3
	v_cndmask_b32_e64 v11, v11, v17, s2
	s_delay_alu instid0(VALU_DEP_1) | instskip(NEXT) | instid1(VALU_DEP_1)
	v_cndmask_b32_e64 v11, v11, v18, s1
	v_cndmask_b32_e64 v11, v11, v1, s4
	s_delay_alu instid0(VALU_DEP_1) | instskip(NEXT) | instid1(VALU_DEP_1)
	;; [unrolled: 3-line block ×3, first 2 shown]
	v_cndmask_b32_e64 v11, v11, v19, s11
	v_cndmask_b32_e64 v6, v11, v20, s12
	v_cndmask_b32_e64 v11, 3, 7, vcc_lo
	s_delay_alu instid0(VALU_DEP_2) | instskip(NEXT) | instid1(VALU_DEP_1)
	v_cndmask_b32_e64 v6, v6, v2, s13
	v_and_b32_e32 v6, 0xff, v6
	ds_swizzle_b32 v6, v6 offset:swizzle(SWAP,4)
	s_waitcnt lgkmcnt(0)
	v_cndmask_b32_e64 v7, v7, v6, s7
	v_cmp_eq_u32_e64 s7, 0, v12
	v_cndmask_b32_e64 v5, v5, v6, s0
	v_cndmask_b32_e64 v4, v4, v6, s6
	v_cmp_eq_u32_e64 s6, 2, v11
	v_cndmask_b32_e64 v13, v13, v6, s9
	;; [unrolled: 3-line block ×3, first 2 shown]
	v_cmp_eq_u32_e64 s5, 4, v11
	v_cmp_eq_u32_e64 s9, 5, v11
	v_cndmask_b32_e32 v15, v15, v6, vcc_lo
	v_cndmask_b32_e64 v12, v10, v7, s7
	v_cndmask_b32_e64 v16, v16, v6, s3
	v_cmp_eq_u32_e64 s3, 6, v11
	v_cndmask_b32_e64 v17, v17, v6, s2
	v_cndmask_b32_e64 v18, v18, v6, s1
	;; [unrolled: 1-line block ×3, first 2 shown]
	v_cmp_eq_u32_e64 s1, 8, v11
	v_cmp_eq_u32_e64 s2, 9, v11
	v_cndmask_b32_e64 v1, v1, v6, s4
	v_cmp_eq_u32_e64 s4, 10, v11
	v_cndmask_b32_e64 v12, v12, v4, s0
	v_cndmask_b32_e64 v0, v0, v6, s8
	v_cmp_eq_u32_e64 s8, 11, v11
	v_cndmask_b32_e64 v3, v3, v6, s10
	v_cmp_eq_u32_e64 s10, 12, v11
	v_cndmask_b32_e64 v12, v12, v13, s5
	v_cndmask_b32_e64 v19, v19, v6, s11
	;; [unrolled: 5-line block ×3, first 2 shown]
	v_cmp_eq_u32_e64 s13, 15, v11
	s_delay_alu instid0(VALU_DEP_3) | instskip(NEXT) | instid1(VALU_DEP_1)
	v_cndmask_b32_e64 v12, v12, v15, s3
	v_cndmask_b32_e32 v12, v12, v16, vcc_lo
	s_delay_alu instid0(VALU_DEP_1) | instskip(NEXT) | instid1(VALU_DEP_1)
	v_cndmask_b32_e64 v12, v12, v17, s1
	v_cndmask_b32_e64 v12, v12, v18, s2
	s_delay_alu instid0(VALU_DEP_1) | instskip(NEXT) | instid1(VALU_DEP_1)
	v_cndmask_b32_e64 v12, v12, v1, s4
	v_cndmask_b32_e64 v12, v12, v0, s8
	;; [unrolled: 3-line block ×3, first 2 shown]
	s_delay_alu instid0(VALU_DEP_1) | instskip(SKIP_1) | instid1(VALU_DEP_2)
	v_cndmask_b32_e64 v6, v12, v20, s12
	v_cndmask_b32_e64 v12, 8, 12, vcc_lo
	v_cndmask_b32_e64 v6, v6, v2, s13
	s_delay_alu instid0(VALU_DEP_2) | instskip(NEXT) | instid1(VALU_DEP_2)
	v_cmp_eq_u32_e64 s14, 6, v12
	v_and_b32_e32 v6, 0xff, v6
	ds_swizzle_b32 v6, v6 offset:swizzle(SWAP,4)
	s_waitcnt lgkmcnt(0)
	v_cndmask_b32_e64 v7, v7, v6, s7
	v_cmp_eq_u32_e64 s7, 0, v11
	v_cndmask_b32_e64 v5, v5, v6, s6
	v_cmp_eq_u32_e64 s6, 1, v12
	v_cndmask_b32_e64 v4, v4, v6, s0
	v_cndmask_b32_e64 v13, v13, v6, s5
	v_cndmask_b32_e64 v10, v10, v6, s7
	v_cmp_eq_u32_e64 s7, 2, v12
	v_cmp_eq_u32_e64 s5, 3, v12
	v_cndmask_b32_e64 v14, v14, v6, s9
	v_cmp_eq_u32_e64 s9, 4, v12
	v_cndmask_b32_e64 v11, v10, v7, s6
	v_cndmask_b32_e64 v15, v15, v6, s3
	v_cmp_eq_u32_e64 s3, 5, v12
	v_cndmask_b32_e32 v16, v16, v6, vcc_lo
	v_cndmask_b32_e64 v17, v17, v6, s1
	v_cndmask_b32_e64 v11, v11, v5, s7
	v_cmp_eq_u32_e64 s1, 7, v12
	v_cndmask_b32_e64 v18, v18, v6, s2
	v_cmp_eq_u32_e64 s2, 9, v12
	v_cndmask_b32_e64 v1, v1, v6, s4
	v_cndmask_b32_e64 v11, v11, v4, s5
	v_cmp_eq_u32_e64 s4, 10, v12
	v_cndmask_b32_e64 v0, v0, v6, s8
	v_cmp_eq_u32_e64 s8, 11, v12
	v_cndmask_b32_e64 v3, v3, v6, s10
	v_cndmask_b32_e64 v11, v11, v13, s9
	;; [unrolled: 1-line block ×3, first 2 shown]
	v_cmp_eq_u32_e64 s10, 13, v12
	v_cndmask_b32_e64 v20, v20, v6, s12
	v_cmp_eq_u32_e64 s11, 14, v12
	v_cndmask_b32_e64 v11, v11, v14, s3
	v_cndmask_b32_e64 v2, v2, v6, s13
	v_cmp_eq_u32_e64 s12, 15, v12
	s_delay_alu instid0(VALU_DEP_3) | instskip(NEXT) | instid1(VALU_DEP_1)
	v_cndmask_b32_e64 v11, v11, v15, s14
	v_cndmask_b32_e64 v11, v11, v16, s1
	s_delay_alu instid0(VALU_DEP_1) | instskip(NEXT) | instid1(VALU_DEP_1)
	v_cndmask_b32_e64 v11, v11, v17, s0
	v_cndmask_b32_e64 v11, v11, v18, s2
	s_delay_alu instid0(VALU_DEP_1) | instskip(NEXT) | instid1(VALU_DEP_1)
	;; [unrolled: 3-line block ×3, first 2 shown]
	v_cndmask_b32_e32 v11, v11, v3, vcc_lo
	v_cndmask_b32_e64 v11, v11, v19, s10
	s_delay_alu instid0(VALU_DEP_1) | instskip(SKIP_1) | instid1(VALU_DEP_2)
	v_cndmask_b32_e64 v6, v11, v20, s11
	v_cndmask_b32_e64 v11, 9, 13, vcc_lo
	v_cndmask_b32_e64 v6, v6, v2, s12
	s_delay_alu instid0(VALU_DEP_2) | instskip(NEXT) | instid1(VALU_DEP_2)
	v_cmp_eq_u32_e64 s13, 7, v11
	v_and_b32_e32 v6, 0xff, v6
	ds_swizzle_b32 v6, v6 offset:swizzle(SWAP,4)
	s_waitcnt lgkmcnt(0)
	v_cndmask_b32_e64 v7, v7, v6, s6
	v_cmp_eq_u32_e64 s6, 0, v12
	v_cndmask_b32_e64 v5, v5, v6, s7
	v_cndmask_b32_e64 v4, v4, v6, s5
	v_cmp_eq_u32_e64 s5, 2, v11
	v_cmp_eq_u32_e64 s7, 3, v11
	v_cndmask_b32_e64 v10, v10, v6, s6
	v_cmp_eq_u32_e64 s6, 1, v11
	v_cndmask_b32_e64 v13, v13, v6, s9
	v_cndmask_b32_e64 v14, v14, v6, s3
	v_cmp_eq_u32_e64 s3, 4, v11
	v_cmp_eq_u32_e64 s9, 5, v11
	v_cndmask_b32_e64 v12, v10, v7, s6
	v_cndmask_b32_e64 v15, v15, v6, s14
	;; [unrolled: 1-line block ×3, first 2 shown]
	v_cmp_eq_u32_e64 s1, 6, v11
	v_cndmask_b32_e64 v17, v17, v6, s0
	v_cndmask_b32_e64 v12, v12, v5, s5
	;; [unrolled: 1-line block ×3, first 2 shown]
	v_cmp_eq_u32_e64 s2, 8, v11
	v_cndmask_b32_e64 v1, v1, v6, s4
	v_cmp_eq_u32_e64 s4, 10, v11
	v_cndmask_b32_e64 v12, v12, v4, s7
	v_cndmask_b32_e64 v0, v0, v6, s8
	v_cmp_eq_u32_e64 s8, 11, v11
	v_cndmask_b32_e32 v3, v3, v6, vcc_lo
	v_cndmask_b32_e64 v19, v19, v6, s10
	v_cndmask_b32_e64 v12, v12, v13, s3
	v_cmp_eq_u32_e64 s10, 12, v11
	v_cndmask_b32_e64 v20, v20, v6, s11
	v_cmp_eq_u32_e64 s11, 14, v11
	v_cndmask_b32_e64 v2, v2, v6, s12
	v_cndmask_b32_e64 v12, v12, v14, s9
	v_cmp_eq_u32_e64 s12, 15, v11
	s_delay_alu instid0(VALU_DEP_2) | instskip(NEXT) | instid1(VALU_DEP_1)
	v_cndmask_b32_e64 v12, v12, v15, s1
	v_cndmask_b32_e64 v12, v12, v16, s13
	s_delay_alu instid0(VALU_DEP_1) | instskip(NEXT) | instid1(VALU_DEP_1)
	v_cndmask_b32_e64 v12, v12, v17, s2
	v_cndmask_b32_e64 v12, v12, v18, s0
	s_delay_alu instid0(VALU_DEP_1) | instskip(NEXT) | instid1(VALU_DEP_1)
	;; [unrolled: 3-line block ×3, first 2 shown]
	v_cndmask_b32_e64 v12, v12, v3, s10
	v_cndmask_b32_e32 v12, v12, v19, vcc_lo
	s_delay_alu instid0(VALU_DEP_1) | instskip(SKIP_1) | instid1(VALU_DEP_2)
	v_cndmask_b32_e64 v6, v12, v20, s11
	v_cndmask_b32_e64 v12, 10, 14, vcc_lo
	v_cndmask_b32_e64 v6, v6, v2, s12
	s_delay_alu instid0(VALU_DEP_1)
	v_and_b32_e32 v6, 0xff, v6
	ds_swizzle_b32 v6, v6 offset:swizzle(SWAP,4)
	s_waitcnt lgkmcnt(0)
	v_cndmask_b32_e64 v7, v7, v6, s6
	v_cmp_eq_u32_e64 s6, 0, v11
	v_cndmask_b32_e64 v5, v5, v6, s5
	v_cmp_eq_u32_e64 s5, 1, v12
	v_cndmask_b32_e64 v4, v4, v6, s7
	v_cndmask_b32_e64 v13, v13, v6, s3
	;; [unrolled: 1-line block ×3, first 2 shown]
	v_cmp_eq_u32_e64 s6, 2, v12
	v_cmp_eq_u32_e64 s3, 3, v12
	;; [unrolled: 1-line block ×3, first 2 shown]
	v_cndmask_b32_e64 v14, v14, v6, s9
	v_cndmask_b32_e64 v11, v10, v7, s5
	;; [unrolled: 1-line block ×3, first 2 shown]
	v_cmp_eq_u32_e64 s1, 5, v12
	v_cmp_eq_u32_e64 s9, 6, v12
	v_cndmask_b32_e64 v16, v16, v6, s13
	v_cndmask_b32_e64 v11, v11, v5, s6
	;; [unrolled: 1-line block ×3, first 2 shown]
	v_cmp_eq_u32_e64 s2, 7, v12
	v_cmp_eq_u32_e64 s13, 8, v12
	v_cndmask_b32_e64 v18, v18, v6, s0
	v_cndmask_b32_e64 v11, v11, v4, s3
	;; [unrolled: 1-line block ×3, first 2 shown]
	v_cmp_eq_u32_e64 s4, 9, v12
	v_cndmask_b32_e64 v0, v0, v6, s8
	v_cmp_eq_u32_e64 s8, 11, v12
	v_cndmask_b32_e64 v11, v11, v13, s7
	v_cndmask_b32_e64 v3, v3, v6, s10
	v_cmp_eq_u32_e64 s10, 12, v12
	v_cndmask_b32_e32 v19, v19, v6, vcc_lo
	v_cndmask_b32_e64 v20, v20, v6, s11
	v_cndmask_b32_e64 v11, v11, v14, s1
	v_cmp_eq_u32_e64 s11, 13, v12
	v_cndmask_b32_e64 v2, v2, v6, s12
	v_cmp_eq_u32_e64 s12, 15, v12
	s_delay_alu instid0(VALU_DEP_4) | instskip(NEXT) | instid1(VALU_DEP_1)
	v_cndmask_b32_e64 v11, v11, v15, s9
	v_cndmask_b32_e64 v11, v11, v16, s2
	s_delay_alu instid0(VALU_DEP_1) | instskip(NEXT) | instid1(VALU_DEP_1)
	v_cndmask_b32_e64 v11, v11, v17, s13
	v_cndmask_b32_e64 v11, v11, v18, s4
	s_delay_alu instid0(VALU_DEP_1) | instskip(NEXT) | instid1(VALU_DEP_1)
	;; [unrolled: 3-line block ×3, first 2 shown]
	v_cndmask_b32_e64 v11, v11, v3, s10
	v_cndmask_b32_e64 v11, v11, v19, s11
	s_delay_alu instid0(VALU_DEP_1) | instskip(SKIP_1) | instid1(VALU_DEP_2)
	v_cndmask_b32_e32 v6, v11, v20, vcc_lo
	v_cndmask_b32_e64 v11, 11, 15, vcc_lo
	v_cndmask_b32_e64 v6, v6, v2, s12
	s_delay_alu instid0(VALU_DEP_1)
	v_and_b32_e32 v6, 0xff, v6
	ds_swizzle_b32 v6, v6 offset:swizzle(SWAP,4)
	s_waitcnt lgkmcnt(0)
	v_cndmask_b32_e64 v7, v7, v6, s5
	v_cmp_eq_u32_e64 s5, 0, v12
	v_cndmask_b32_e64 v5, v5, v6, s6
	v_cndmask_b32_e64 v4, v4, v6, s3
	v_cmp_eq_u32_e64 s3, 2, v11
	v_cmp_eq_u32_e64 s6, 3, v11
	v_cndmask_b32_e64 v10, v10, v6, s5
	v_cmp_eq_u32_e64 s5, 1, v11
	v_cndmask_b32_e64 v13, v13, v6, s7
	v_cndmask_b32_e64 v14, v14, v6, s1
	v_cmp_eq_u32_e64 s1, 4, v11
	v_cmp_eq_u32_e64 s7, 5, v11
	v_cndmask_b32_e64 v12, v10, v7, s5
	v_cndmask_b32_e64 v15, v15, v6, s9
	v_cndmask_b32_e64 v16, v16, v6, s2
	v_cmp_eq_u32_e64 s2, 6, v11
	v_cmp_eq_u32_e64 s9, 7, v11
	v_cndmask_b32_e64 v12, v12, v5, s3
	;; [unrolled: 5-line block ×3, first 2 shown]
	v_cndmask_b32_e64 v1, v1, v6, s0
	v_cndmask_b32_e64 v0, v0, v6, s8
	v_cmp_eq_u32_e64 s8, 10, v11
	v_cndmask_b32_e64 v3, v3, v6, s10
	v_cndmask_b32_e64 v12, v12, v13, s1
	v_cmp_eq_u32_e64 s10, 12, v11
	v_cndmask_b32_e64 v19, v19, v6, s11
	v_cmp_eq_u32_e64 s11, 13, v11
	v_cndmask_b32_e32 v20, v20, v6, vcc_lo
	v_cndmask_b32_e64 v12, v12, v14, s7
	v_cndmask_b32_e64 v2, v2, v6, s12
	v_cmp_eq_u32_e64 s12, 14, v11
	s_delay_alu instid0(VALU_DEP_3) | instskip(NEXT) | instid1(VALU_DEP_1)
	v_cndmask_b32_e64 v12, v12, v15, s2
	v_cndmask_b32_e64 v12, v12, v16, s9
	s_delay_alu instid0(VALU_DEP_1) | instskip(NEXT) | instid1(VALU_DEP_1)
	v_cndmask_b32_e64 v12, v12, v17, s4
	v_cndmask_b32_e64 v12, v12, v18, s13
	s_delay_alu instid0(VALU_DEP_1) | instskip(NEXT) | instid1(VALU_DEP_1)
	;; [unrolled: 3-line block ×3, first 2 shown]
	v_cndmask_b32_e64 v12, v12, v3, s10
	v_cndmask_b32_e64 v12, v12, v19, s11
	s_delay_alu instid0(VALU_DEP_1) | instskip(SKIP_1) | instid1(VALU_DEP_2)
	v_cndmask_b32_e64 v6, v12, v20, s12
	v_and_b32_e32 v12, 2, v9
	v_dual_cndmask_b32 v6, v6, v2 :: v_dual_and_b32 v9, 1, v9
	s_delay_alu instid0(VALU_DEP_2) | instskip(NEXT) | instid1(VALU_DEP_2)
	v_xor_b32_e32 v21, 2, v12
	v_and_b32_e32 v6, 0xff, v6
	s_delay_alu instid0(VALU_DEP_2)
	v_cmp_eq_u32_e64 s14, 10, v21
	v_cmp_eq_u32_e64 s15, 15, v21
	ds_swizzle_b32 v6, v6 offset:swizzle(SWAP,4)
	s_waitcnt lgkmcnt(0)
	v_cndmask_b32_e64 v7, v7, v6, s5
	v_cmp_eq_u32_e64 s5, 0, v11
	v_cndmask_b32_e64 v5, v5, v6, s3
	v_cmp_eq_u32_e64 s3, 1, v21
	;; [unrolled: 2-line block ×4, first 2 shown]
	v_cndmask_b32_e64 v13, v13, v6, s1
	v_cndmask_b32_e64 v14, v14, v6, s7
	v_cmp_eq_u32_e64 s7, 4, v21
	v_cndmask_b32_e64 v11, v10, v7, s3
	v_cndmask_b32_e64 v15, v15, v6, s2
	v_cmp_eq_u32_e64 s2, 5, v21
	v_cndmask_b32_e64 v16, v16, v6, s9
	v_cmp_eq_u32_e64 s9, 6, v21
	v_cndmask_b32_e64 v11, v11, v5, s5
	v_cndmask_b32_e64 v17, v17, v6, s4
	v_cmp_eq_u32_e64 s4, 7, v21
	;; [unrolled: 5-line block ×3, first 2 shown]
	v_cndmask_b32_e64 v0, v0, v6, s0
	v_cndmask_b32_e64 v3, v3, v6, s10
	;; [unrolled: 1-line block ×3, first 2 shown]
	v_cmp_eq_u32_e64 s10, 11, v21
	v_cndmask_b32_e64 v19, v19, v6, s11
	v_cmp_eq_u32_e64 s11, 12, v21
	v_cndmask_b32_e64 v20, v20, v6, s12
	v_cndmask_b32_e64 v11, v11, v14, s2
	v_cmp_eq_u32_e64 s12, 13, v21
	v_cndmask_b32_e32 v2, v2, v6, vcc_lo
	v_cmp_eq_u32_e32 vcc_lo, 14, v21
	v_cmp_eq_u32_e64 s0, 0, v21
	v_cndmask_b32_e64 v11, v11, v15, s9
	v_cmp_ne_u32_e64 s1, 0, v12
	s_delay_alu instid0(VALU_DEP_2) | instskip(NEXT) | instid1(VALU_DEP_1)
	v_cndmask_b32_e64 v11, v11, v16, s4
	v_cndmask_b32_e64 v11, v11, v17, s13
	s_delay_alu instid0(VALU_DEP_1) | instskip(NEXT) | instid1(VALU_DEP_1)
	v_cndmask_b32_e64 v11, v11, v18, s8
	v_cndmask_b32_e64 v11, v11, v1, s14
	s_delay_alu instid0(VALU_DEP_1) | instskip(NEXT) | instid1(VALU_DEP_1)
	;; [unrolled: 3-line block ×3, first 2 shown]
	v_cndmask_b32_e64 v11, v11, v19, s12
	v_cndmask_b32_e32 v6, v11, v20, vcc_lo
	s_delay_alu instid0(VALU_DEP_1) | instskip(NEXT) | instid1(VALU_DEP_1)
	v_cndmask_b32_e64 v6, v6, v2, s15
	v_and_b32_e32 v6, 0xff, v6
	ds_swizzle_b32 v6, v6 offset:swizzle(SWAP,2)
	s_waitcnt lgkmcnt(0)
	v_cndmask_b32_e64 v10, v10, v6, s0
	v_cmp_eq_u32_e64 s0, 0, v12
	v_cndmask_b32_e64 v7, v7, v6, s3
	v_cndmask_b32_e64 v5, v5, v6, s5
	;; [unrolled: 1-line block ×9, first 2 shown]
	v_cmp_eq_u32_e64 s3, 2, v11
	v_cmp_eq_u32_e64 s2, 4, v11
	;; [unrolled: 1-line block ×5, first 2 shown]
	v_cndmask_b32_e64 v12, v12, v5, s3
	v_cndmask_b32_e64 v17, v17, v6, s13
	v_cmp_eq_u32_e64 s7, 8, v11
	v_cndmask_b32_e64 v18, v18, v6, s8
	v_cmp_eq_u32_e64 s8, 9, v11
	v_cndmask_b32_e64 v12, v12, v4, s0
	v_cndmask_b32_e64 v1, v1, v6, s14
	v_cmp_eq_u32_e64 s9, 10, v11
	v_cndmask_b32_e64 v0, v0, v6, s10
	v_cmp_eq_u32_e64 s10, 11, v11
	v_cndmask_b32_e64 v12, v12, v13, s2
	v_cndmask_b32_e64 v3, v3, v6, s11
	v_cmp_eq_u32_e64 s11, 12, v11
	v_cndmask_b32_e64 v19, v19, v6, s12
	v_cndmask_b32_e32 v20, v20, v6, vcc_lo
	v_cndmask_b32_e64 v12, v12, v14, s5
	v_cmp_eq_u32_e32 vcc_lo, 13, v11
	v_cmp_eq_u32_e64 s12, 14, v11
	v_cndmask_b32_e64 v2, v2, v6, s15
	v_cmp_eq_u32_e64 s13, 15, v11
	v_cndmask_b32_e64 v12, v12, v15, s4
	v_cmp_eq_u32_e64 s14, 0, v11
	s_delay_alu instid0(VALU_DEP_2) | instskip(NEXT) | instid1(VALU_DEP_1)
	v_cndmask_b32_e64 v12, v12, v16, s6
	v_cndmask_b32_e64 v12, v12, v17, s7
	s_delay_alu instid0(VALU_DEP_1) | instskip(NEXT) | instid1(VALU_DEP_1)
	v_cndmask_b32_e64 v12, v12, v18, s8
	v_cndmask_b32_e64 v12, v12, v1, s9
	s_delay_alu instid0(VALU_DEP_1) | instskip(NEXT) | instid1(VALU_DEP_1)
	;; [unrolled: 3-line block ×3, first 2 shown]
	v_cndmask_b32_e32 v12, v12, v19, vcc_lo
	v_cndmask_b32_e64 v6, v12, v20, s12
	v_cndmask_b32_e64 v12, 4, 6, s0
	s_delay_alu instid0(VALU_DEP_2) | instskip(NEXT) | instid1(VALU_DEP_1)
	v_cndmask_b32_e64 v6, v6, v2, s13
	v_and_b32_e32 v6, 0xff, v6
	ds_swizzle_b32 v6, v6 offset:swizzle(SWAP,2)
	s_waitcnt lgkmcnt(0)
	v_cndmask_b32_e64 v7, v7, v6, s1
	v_cndmask_b32_e64 v10, v10, v6, s14
	;; [unrolled: 1-line block ×3, first 2 shown]
	v_cmp_eq_u32_e64 s3, 1, v12
	v_cmp_eq_u32_e64 s14, 2, v12
	v_cndmask_b32_e64 v4, v4, v6, s0
	v_cndmask_b32_e64 v13, v13, v6, s2
	v_cmp_eq_u32_e64 s2, 3, v12
	v_cndmask_b32_e64 v11, v10, v7, s3
	v_cndmask_b32_e64 v14, v14, v6, s5
	;; [unrolled: 1-line block ×3, first 2 shown]
	v_cmp_eq_u32_e64 s4, 5, v12
	v_cndmask_b32_e64 v16, v16, v6, s6
	v_cndmask_b32_e64 v11, v11, v5, s14
	v_cmp_eq_u32_e64 s5, 7, v12
	v_cndmask_b32_e64 v17, v17, v6, s7
	v_cmp_eq_u32_e64 s6, 8, v12
	v_cndmask_b32_e64 v18, v18, v6, s8
	v_cndmask_b32_e64 v11, v11, v4, s2
	v_cmp_eq_u32_e64 s7, 9, v12
	v_cndmask_b32_e64 v1, v1, v6, s9
	v_cmp_eq_u32_e64 s8, 10, v12
	v_cndmask_b32_e64 v0, v0, v6, s10
	v_cndmask_b32_e64 v11, v11, v13, s1
	v_cmp_eq_u32_e64 s9, 11, v12
	v_cndmask_b32_e64 v3, v3, v6, s11
	v_cndmask_b32_e32 v19, v19, v6, vcc_lo
	v_cmp_eq_u32_e32 vcc_lo, 12, v12
	v_cndmask_b32_e64 v11, v11, v14, s4
	v_cmp_eq_u32_e64 s10, 13, v12
	v_cndmask_b32_e64 v20, v20, v6, s12
	v_cmp_eq_u32_e64 s11, 14, v12
	v_cndmask_b32_e64 v2, v2, v6, s13
	v_cndmask_b32_e64 v11, v11, v15, s0
	v_cmp_eq_u32_e64 s12, 15, v12
	s_delay_alu instid0(VALU_DEP_2) | instskip(NEXT) | instid1(VALU_DEP_1)
	v_cndmask_b32_e64 v11, v11, v16, s5
	v_cndmask_b32_e64 v11, v11, v17, s6
	s_delay_alu instid0(VALU_DEP_1) | instskip(NEXT) | instid1(VALU_DEP_1)
	v_cndmask_b32_e64 v11, v11, v18, s7
	v_cndmask_b32_e64 v11, v11, v1, s8
	s_delay_alu instid0(VALU_DEP_1) | instskip(NEXT) | instid1(VALU_DEP_1)
	v_cndmask_b32_e64 v11, v11, v0, s9
	v_cndmask_b32_e32 v11, v11, v3, vcc_lo
	s_delay_alu instid0(VALU_DEP_1) | instskip(NEXT) | instid1(VALU_DEP_1)
	v_cndmask_b32_e64 v11, v11, v19, s10
	v_cndmask_b32_e64 v6, v11, v20, s11
	;; [unrolled: 1-line block ×3, first 2 shown]
	s_delay_alu instid0(VALU_DEP_2) | instskip(NEXT) | instid1(VALU_DEP_2)
	v_cndmask_b32_e64 v6, v6, v2, s12
	v_cmp_eq_u32_e64 s13, 3, v11
	s_delay_alu instid0(VALU_DEP_2)
	v_and_b32_e32 v6, 0xff, v6
	ds_swizzle_b32 v6, v6 offset:swizzle(SWAP,2)
	s_waitcnt lgkmcnt(0)
	v_cndmask_b32_e64 v7, v7, v6, s3
	v_cmp_eq_u32_e64 s3, 0, v12
	v_cndmask_b32_e64 v5, v5, v6, s14
	v_cndmask_b32_e64 v4, v4, v6, s2
	v_cmp_eq_u32_e64 s2, 2, v11
	v_cndmask_b32_e64 v13, v13, v6, s1
	;; [unrolled: 3-line block ×3, first 2 shown]
	v_cmp_eq_u32_e64 s4, 4, v11
	v_cndmask_b32_e64 v15, v15, v6, s0
	v_cndmask_b32_e64 v16, v16, v6, s5
	;; [unrolled: 1-line block ×3, first 2 shown]
	v_cmp_eq_u32_e64 s5, 6, v11
	v_cndmask_b32_e64 v17, v17, v6, s6
	v_cmp_eq_u32_e64 s6, 8, v11
	v_cndmask_b32_e64 v18, v18, v6, s7
	v_cndmask_b32_e64 v12, v12, v5, s2
	v_cmp_eq_u32_e64 s7, 9, v11
	v_cndmask_b32_e64 v1, v1, v6, s8
	v_cmp_eq_u32_e64 s8, 10, v11
	v_cndmask_b32_e64 v0, v0, v6, s9
	v_cndmask_b32_e64 v12, v12, v4, s13
	v_cndmask_b32_e32 v3, v3, v6, vcc_lo
	v_cmp_eq_u32_e32 vcc_lo, 11, v11
	v_cmp_eq_u32_e64 s9, 12, v11
	v_cndmask_b32_e64 v19, v19, v6, s10
	v_cndmask_b32_e64 v12, v12, v13, s4
	v_cmp_eq_u32_e64 s10, 13, v11
	v_cndmask_b32_e64 v20, v20, v6, s11
	v_cmp_eq_u32_e64 s11, 14, v11
	v_cndmask_b32_e64 v2, v2, v6, s12
	v_cndmask_b32_e64 v12, v12, v14, s1
	v_cmp_eq_u32_e64 s12, 15, v11
	s_delay_alu instid0(VALU_DEP_2) | instskip(NEXT) | instid1(VALU_DEP_1)
	v_cndmask_b32_e64 v12, v12, v15, s5
	v_cndmask_b32_e64 v12, v12, v16, s0
	s_delay_alu instid0(VALU_DEP_1) | instskip(NEXT) | instid1(VALU_DEP_1)
	v_cndmask_b32_e64 v12, v12, v17, s6
	v_cndmask_b32_e64 v12, v12, v18, s7
	s_delay_alu instid0(VALU_DEP_1) | instskip(NEXT) | instid1(VALU_DEP_1)
	v_cndmask_b32_e64 v12, v12, v1, s8
	v_cndmask_b32_e32 v12, v12, v0, vcc_lo
	s_delay_alu instid0(VALU_DEP_1) | instskip(NEXT) | instid1(VALU_DEP_1)
	v_cndmask_b32_e64 v12, v12, v3, s9
	v_cndmask_b32_e64 v12, v12, v19, s10
	s_delay_alu instid0(VALU_DEP_1) | instskip(SKIP_1) | instid1(VALU_DEP_2)
	v_cndmask_b32_e64 v6, v12, v20, s11
	v_cndmask_b32_e64 v12, 8, 10, s0
	;; [unrolled: 1-line block ×3, first 2 shown]
	s_delay_alu instid0(VALU_DEP_2) | instskip(NEXT) | instid1(VALU_DEP_2)
	v_cmp_eq_u32_e64 s14, 6, v12
	v_and_b32_e32 v6, 0xff, v6
	ds_swizzle_b32 v6, v6 offset:swizzle(SWAP,2)
	s_waitcnt lgkmcnt(0)
	v_cndmask_b32_e64 v7, v7, v6, s3
	v_cmp_eq_u32_e64 s3, 0, v11
	v_cndmask_b32_e64 v5, v5, v6, s2
	v_cmp_eq_u32_e64 s2, 1, v12
	v_cndmask_b32_e64 v4, v4, v6, s13
	v_cndmask_b32_e64 v13, v13, v6, s4
	;; [unrolled: 1-line block ×3, first 2 shown]
	v_cmp_eq_u32_e64 s3, 2, v12
	v_cmp_eq_u32_e64 s4, 3, v12
	;; [unrolled: 1-line block ×3, first 2 shown]
	v_cndmask_b32_e64 v14, v14, v6, s1
	v_cndmask_b32_e64 v11, v10, v7, s2
	;; [unrolled: 1-line block ×3, first 2 shown]
	v_cmp_eq_u32_e64 s5, 5, v12
	v_cndmask_b32_e64 v16, v16, v6, s0
	v_cndmask_b32_e64 v17, v17, v6, s6
	;; [unrolled: 1-line block ×3, first 2 shown]
	v_cmp_eq_u32_e64 s6, 7, v12
	v_cndmask_b32_e64 v18, v18, v6, s7
	v_cmp_eq_u32_e64 s7, 9, v12
	v_cndmask_b32_e64 v1, v1, v6, s8
	v_cndmask_b32_e64 v11, v11, v4, s4
	v_cndmask_b32_e32 v0, v0, v6, vcc_lo
	v_cmp_eq_u32_e32 vcc_lo, 11, v12
	v_cndmask_b32_e64 v3, v3, v6, s9
	v_cmp_eq_u32_e64 s8, 12, v12
	v_cndmask_b32_e64 v11, v11, v13, s13
	v_cndmask_b32_e64 v19, v19, v6, s10
	v_cmp_eq_u32_e64 s9, 13, v12
	v_cndmask_b32_e64 v20, v20, v6, s11
	v_cmp_eq_u32_e64 s10, 14, v12
	v_cndmask_b32_e64 v11, v11, v14, s5
	v_cndmask_b32_e64 v2, v2, v6, s12
	v_cmp_eq_u32_e64 s11, 15, v12
	s_delay_alu instid0(VALU_DEP_3) | instskip(NEXT) | instid1(VALU_DEP_1)
	v_cndmask_b32_e64 v11, v11, v15, s14
	v_cndmask_b32_e64 v11, v11, v16, s6
	s_delay_alu instid0(VALU_DEP_1) | instskip(NEXT) | instid1(VALU_DEP_1)
	v_cndmask_b32_e64 v11, v11, v17, s1
	v_cndmask_b32_e64 v11, v11, v18, s7
	s_delay_alu instid0(VALU_DEP_1) | instskip(NEXT) | instid1(VALU_DEP_1)
	v_cndmask_b32_e64 v11, v11, v1, s0
	v_cndmask_b32_e32 v11, v11, v0, vcc_lo
	s_delay_alu instid0(VALU_DEP_1) | instskip(NEXT) | instid1(VALU_DEP_1)
	v_cndmask_b32_e64 v11, v11, v3, s8
	v_cndmask_b32_e64 v11, v11, v19, s9
	s_delay_alu instid0(VALU_DEP_1) | instskip(SKIP_1) | instid1(VALU_DEP_2)
	v_cndmask_b32_e64 v6, v11, v20, s10
	v_cndmask_b32_e64 v11, 9, 11, s0
	v_cndmask_b32_e64 v6, v6, v2, s11
	s_delay_alu instid0(VALU_DEP_2) | instskip(NEXT) | instid1(VALU_DEP_2)
	v_cmp_eq_u32_e64 s12, 5, v11
	v_and_b32_e32 v6, 0xff, v6
	ds_swizzle_b32 v6, v6 offset:swizzle(SWAP,2)
	s_waitcnt lgkmcnt(0)
	v_cndmask_b32_e64 v7, v7, v6, s2
	v_cmp_eq_u32_e64 s2, 0, v12
	v_cndmask_b32_e64 v5, v5, v6, s3
	v_cmp_eq_u32_e64 s3, 2, v11
	v_cndmask_b32_e64 v4, v4, v6, s4
	v_cmp_eq_u32_e64 s4, 3, v11
	v_cndmask_b32_e64 v10, v10, v6, s2
	v_cmp_eq_u32_e64 s2, 1, v11
	v_cndmask_b32_e64 v13, v13, v6, s13
	v_cndmask_b32_e64 v14, v14, v6, s5
	v_cmp_eq_u32_e64 s5, 4, v11
	v_cndmask_b32_e64 v15, v15, v6, s14
	v_cndmask_b32_e64 v12, v10, v7, s2
	;; [unrolled: 1-line block ×3, first 2 shown]
	v_cmp_eq_u32_e64 s6, 6, v11
	v_cmp_eq_u32_e64 s13, 7, v11
	v_cndmask_b32_e64 v17, v17, v6, s1
	v_cndmask_b32_e64 v12, v12, v5, s3
	;; [unrolled: 1-line block ×3, first 2 shown]
	v_cmp_eq_u32_e64 s7, 8, v11
	v_cndmask_b32_e64 v1, v1, v6, s0
	v_cndmask_b32_e32 v0, v0, v6, vcc_lo
	v_cndmask_b32_e64 v12, v12, v4, s4
	v_cmp_eq_u32_e32 vcc_lo, 10, v11
	v_cndmask_b32_e64 v3, v3, v6, s8
	v_cmp_eq_u32_e64 s8, 12, v11
	v_cndmask_b32_e64 v19, v19, v6, s9
	v_cndmask_b32_e64 v12, v12, v13, s5
	v_cmp_eq_u32_e64 s9, 13, v11
	v_cndmask_b32_e64 v20, v20, v6, s10
	v_cmp_eq_u32_e64 s10, 14, v11
	v_cndmask_b32_e64 v2, v2, v6, s11
	v_cndmask_b32_e64 v12, v12, v14, s12
	v_cmp_eq_u32_e64 s11, 15, v11
	s_delay_alu instid0(VALU_DEP_2) | instskip(NEXT) | instid1(VALU_DEP_1)
	v_cndmask_b32_e64 v12, v12, v15, s6
	v_cndmask_b32_e64 v12, v12, v16, s13
	s_delay_alu instid0(VALU_DEP_1) | instskip(NEXT) | instid1(VALU_DEP_1)
	v_cndmask_b32_e64 v12, v12, v17, s7
	v_cndmask_b32_e64 v12, v12, v18, s1
	s_delay_alu instid0(VALU_DEP_1) | instskip(NEXT) | instid1(VALU_DEP_1)
	v_cndmask_b32_e32 v12, v12, v1, vcc_lo
	v_cndmask_b32_e64 v12, v12, v0, s0
	s_delay_alu instid0(VALU_DEP_1) | instskip(NEXT) | instid1(VALU_DEP_1)
	v_cndmask_b32_e64 v12, v12, v3, s8
	v_cndmask_b32_e64 v12, v12, v19, s9
	s_delay_alu instid0(VALU_DEP_1) | instskip(SKIP_1) | instid1(VALU_DEP_2)
	v_cndmask_b32_e64 v6, v12, v20, s10
	v_cndmask_b32_e64 v12, 12, 14, s0
	;; [unrolled: 1-line block ×3, first 2 shown]
	s_delay_alu instid0(VALU_DEP_2) | instskip(NEXT) | instid1(VALU_DEP_2)
	v_cmp_eq_u32_e64 s14, 10, v12
	v_and_b32_e32 v6, 0xff, v6
	ds_swizzle_b32 v6, v6 offset:swizzle(SWAP,2)
	s_waitcnt lgkmcnt(0)
	v_cndmask_b32_e64 v7, v7, v6, s2
	v_cmp_eq_u32_e64 s2, 0, v11
	v_cndmask_b32_e64 v5, v5, v6, s3
	v_cmp_eq_u32_e64 s3, 2, v12
	;; [unrolled: 2-line block ×5, first 2 shown]
	v_cndmask_b32_e64 v14, v14, v6, s12
	v_cndmask_b32_e64 v15, v15, v6, s6
	;; [unrolled: 1-line block ×3, first 2 shown]
	v_cmp_eq_u32_e64 s6, 5, v12
	v_cmp_eq_u32_e64 s12, 6, v12
	v_cndmask_b32_e64 v16, v16, v6, s13
	v_cndmask_b32_e64 v17, v17, v6, s7
	;; [unrolled: 1-line block ×3, first 2 shown]
	v_cmp_eq_u32_e64 s7, 7, v12
	v_cmp_eq_u32_e64 s13, 8, v12
	v_cndmask_b32_e64 v18, v18, v6, s1
	v_cndmask_b32_e32 v1, v1, v6, vcc_lo
	v_cndmask_b32_e64 v11, v11, v4, s4
	v_cmp_eq_u32_e32 vcc_lo, 9, v12
	v_cndmask_b32_e64 v0, v0, v6, s0
	v_cndmask_b32_e64 v3, v3, v6, s8
	v_cmp_eq_u32_e64 s8, 11, v12
	v_cndmask_b32_e64 v11, v11, v13, s5
	v_cndmask_b32_e64 v19, v19, v6, s9
	v_cmp_eq_u32_e64 s9, 13, v12
	v_cndmask_b32_e64 v20, v20, v6, s10
	v_cndmask_b32_e64 v2, v2, v6, s11
	;; [unrolled: 1-line block ×3, first 2 shown]
	v_cmp_eq_u32_e64 s10, 15, v12
	s_delay_alu instid0(VALU_DEP_2) | instskip(NEXT) | instid1(VALU_DEP_1)
	v_cndmask_b32_e64 v11, v11, v15, s12
	v_cndmask_b32_e64 v11, v11, v16, s7
	s_delay_alu instid0(VALU_DEP_1) | instskip(NEXT) | instid1(VALU_DEP_1)
	v_cndmask_b32_e64 v11, v11, v17, s13
	v_cndmask_b32_e32 v11, v11, v18, vcc_lo
	s_delay_alu instid0(VALU_DEP_1) | instskip(NEXT) | instid1(VALU_DEP_1)
	v_cndmask_b32_e64 v11, v11, v1, s14
	v_cndmask_b32_e64 v11, v11, v0, s8
	s_delay_alu instid0(VALU_DEP_1) | instskip(NEXT) | instid1(VALU_DEP_1)
	v_cndmask_b32_e64 v11, v11, v3, s1
	v_cndmask_b32_e64 v11, v11, v19, s9
	s_delay_alu instid0(VALU_DEP_1) | instskip(SKIP_1) | instid1(VALU_DEP_2)
	v_cndmask_b32_e64 v6, v11, v20, s0
	v_cndmask_b32_e64 v11, 13, 15, s0
	;; [unrolled: 1-line block ×3, first 2 shown]
	s_delay_alu instid0(VALU_DEP_2) | instskip(NEXT) | instid1(VALU_DEP_2)
	v_cmp_eq_u32_e64 s11, 7, v11
	v_and_b32_e32 v6, 0xff, v6
	ds_swizzle_b32 v6, v6 offset:swizzle(SWAP,2)
	s_waitcnt lgkmcnt(0)
	v_cndmask_b32_e64 v7, v7, v6, s2
	v_cmp_eq_u32_e64 s2, 0, v12
	v_cndmask_b32_e64 v5, v5, v6, s3
	v_cmp_eq_u32_e64 s3, 2, v11
	;; [unrolled: 2-line block ×6, first 2 shown]
	v_cndmask_b32_e64 v12, v10, v7, s2
	v_cndmask_b32_e64 v15, v15, v6, s12
	;; [unrolled: 1-line block ×3, first 2 shown]
	v_cmp_eq_u32_e64 s7, 6, v11
	v_cndmask_b32_e64 v17, v17, v6, s13
	v_cndmask_b32_e64 v12, v12, v5, s3
	v_cmp_eq_u32_e64 s12, 8, v11
	v_cndmask_b32_e32 v18, v18, v6, vcc_lo
	v_cmp_eq_u32_e64 s13, 9, v11
	v_cndmask_b32_e64 v1, v1, v6, s14
	v_cndmask_b32_e64 v12, v12, v4, s4
	;; [unrolled: 1-line block ×3, first 2 shown]
	v_cmp_eq_u32_e64 s8, 10, v11
	v_cmp_eq_u32_e64 s14, 11, v11
	v_cndmask_b32_e64 v3, v3, v6, s1
	v_cndmask_b32_e64 v12, v12, v13, s5
	;; [unrolled: 1-line block ×3, first 2 shown]
	v_cmp_eq_u32_e64 s9, 12, v11
	v_cndmask_b32_e64 v20, v20, v6, s0
	v_cndmask_b32_e64 v2, v2, v6, s10
	;; [unrolled: 1-line block ×3, first 2 shown]
	v_cmp_eq_u32_e64 s10, 14, v11
	v_cmp_eq_u32_e32 vcc_lo, 0, v11
	v_xor_b32_e32 v11, 1, v9
	s_delay_alu instid0(VALU_DEP_4) | instskip(NEXT) | instid1(VALU_DEP_1)
	v_cndmask_b32_e64 v12, v12, v15, s7
	v_cndmask_b32_e64 v12, v12, v16, s11
	s_delay_alu instid0(VALU_DEP_1) | instskip(NEXT) | instid1(VALU_DEP_1)
	v_cndmask_b32_e64 v12, v12, v17, s12
	v_cndmask_b32_e64 v12, v12, v18, s13
	s_delay_alu instid0(VALU_DEP_1) | instskip(NEXT) | instid1(VALU_DEP_1)
	v_cndmask_b32_e64 v12, v12, v1, s8
	v_cndmask_b32_e64 v12, v12, v0, s14
	s_delay_alu instid0(VALU_DEP_1) | instskip(NEXT) | instid1(VALU_DEP_1)
	v_cndmask_b32_e64 v12, v12, v3, s9
	v_cndmask_b32_e64 v12, v12, v19, s1
	s_delay_alu instid0(VALU_DEP_1) | instskip(NEXT) | instid1(VALU_DEP_1)
	v_cndmask_b32_e64 v6, v12, v20, s10
	v_cndmask_b32_e64 v6, v6, v2, s0
	s_delay_alu instid0(VALU_DEP_1)
	v_and_b32_e32 v6, 0xff, v6
	ds_swizzle_b32 v6, v6 offset:swizzle(SWAP,2)
	s_waitcnt lgkmcnt(0)
	v_cndmask_b32_e32 v10, v10, v6, vcc_lo
	v_cndmask_b32_e64 v7, v7, v6, s2
	v_cmp_eq_u32_e32 vcc_lo, 1, v9
	v_cndmask_b32_e64 v5, v5, v6, s3
	v_cmp_eq_u32_e64 s2, 2, v11
	v_cndmask_b32_e64 v4, v4, v6, s4
	v_cmp_eq_u32_e64 s3, 3, v11
	v_cndmask_b32_e32 v12, v7, v10, vcc_lo
	v_cndmask_b32_e64 v13, v13, v6, s5
	v_cmp_eq_u32_e64 s4, 4, v11
	v_cndmask_b32_e64 v14, v14, v6, s6
	v_cmp_eq_u32_e64 s5, 5, v11
	v_cndmask_b32_e64 v12, v12, v5, s2
	v_cndmask_b32_e64 v15, v15, v6, s7
	v_cmp_eq_u32_e64 s6, 6, v11
	v_cndmask_b32_e64 v16, v16, v6, s11
	v_cmp_eq_u32_e64 s7, 7, v11
	v_cndmask_b32_e64 v12, v12, v4, s3
	v_cndmask_b32_e64 v17, v17, v6, s12
	v_cmp_eq_u32_e64 s11, 8, v11
	v_cndmask_b32_e64 v18, v18, v6, s13
	v_cndmask_b32_e64 v1, v1, v6, s8
	;; [unrolled: 1-line block ×3, first 2 shown]
	v_cmp_eq_u32_e64 s8, 9, v11
	v_cmp_eq_u32_e64 s12, 10, v11
	v_cndmask_b32_e64 v0, v0, v6, s14
	v_cndmask_b32_e64 v3, v3, v6, s9
	;; [unrolled: 1-line block ×3, first 2 shown]
	v_cmp_eq_u32_e64 s9, 11, v11
	v_cndmask_b32_e64 v19, v19, v6, s1
	v_cmp_eq_u32_e64 s1, 12, v11
	v_cndmask_b32_e64 v20, v20, v6, s10
	v_cndmask_b32_e64 v12, v12, v15, s6
	v_cmp_eq_u32_e64 s10, 13, v11
	v_cmp_eq_u32_e64 s13, 14, v11
	v_cndmask_b32_e64 v2, v2, v6, s0
	v_cmp_eq_u32_e64 s14, 15, v11
	v_cndmask_b32_e64 v12, v12, v16, s7
	v_cmp_eq_u32_e64 s0, 0, v9
	s_delay_alu instid0(VALU_DEP_2) | instskip(NEXT) | instid1(VALU_DEP_2)
	v_cndmask_b32_e64 v12, v12, v17, s11
	v_cndmask_b32_e64 v9, 2, 3, s0
	s_delay_alu instid0(VALU_DEP_2) | instskip(NEXT) | instid1(VALU_DEP_1)
	v_cndmask_b32_e64 v12, v12, v18, s8
	v_cndmask_b32_e64 v12, v12, v1, s12
	s_delay_alu instid0(VALU_DEP_1) | instskip(NEXT) | instid1(VALU_DEP_1)
	v_cndmask_b32_e64 v12, v12, v0, s9
	v_cndmask_b32_e64 v12, v12, v3, s1
	s_delay_alu instid0(VALU_DEP_1) | instskip(NEXT) | instid1(VALU_DEP_1)
	;; [unrolled: 3-line block ×3, first 2 shown]
	v_cndmask_b32_e64 v6, v6, v2, s14
	v_and_b32_e32 v6, 0xff, v6
	ds_swizzle_b32 v6, v6 offset:swizzle(SWAP,1)
	s_waitcnt lgkmcnt(0)
	v_cndmask_b32_e32 v7, v6, v7, vcc_lo
	v_cndmask_b32_e32 v10, v10, v6, vcc_lo
	v_cndmask_b32_e64 v5, v5, v6, s2
	v_cmp_eq_u32_e64 s2, 1, v9
	v_cndmask_b32_e64 v4, v4, v6, s3
	v_cndmask_b32_e64 v12, v13, v6, s4
	v_cmp_eq_u32_e64 s3, 4, v9
	v_cndmask_b32_e64 v13, v14, v6, s5
	;; [unrolled: 3-line block ×3, first 2 shown]
	v_cmp_eq_u32_e64 s5, 6, v9
	v_cndmask_b32_e64 v15, v16, v6, s7
	v_cndmask_b32_e32 v11, v11, v5, vcc_lo
	v_cmp_eq_u32_e64 s6, 7, v9
	v_cndmask_b32_e64 v16, v17, v6, s11
	v_cmp_eq_u32_e64 s7, 8, v9
	v_cndmask_b32_e64 v17, v18, v6, s8
	v_cndmask_b32_e64 v11, v11, v4, s0
	v_cmp_eq_u32_e64 s8, 9, v9
	v_cndmask_b32_e64 v1, v1, v6, s12
	;; [unrolled: 3-line block ×4, first 2 shown]
	v_cmp_eq_u32_e64 s10, 12, v9
	v_cndmask_b32_e64 v11, v11, v13, s4
	v_cmp_eq_u32_e64 s11, 13, v9
	v_cndmask_b32_e64 v19, v20, v6, s13
	;; [unrolled: 2-line block ×3, first 2 shown]
	v_cndmask_b32_e64 v11, v11, v14, s5
	v_cmp_eq_u32_e64 s13, 15, v9
	s_delay_alu instid0(VALU_DEP_2) | instskip(NEXT) | instid1(VALU_DEP_1)
	v_cndmask_b32_e64 v11, v11, v15, s6
	v_cndmask_b32_e64 v11, v11, v16, s7
	s_delay_alu instid0(VALU_DEP_1) | instskip(NEXT) | instid1(VALU_DEP_1)
	v_cndmask_b32_e64 v11, v11, v17, s8
	v_cndmask_b32_e64 v11, v11, v1, s9
	s_delay_alu instid0(VALU_DEP_1) | instskip(NEXT) | instid1(VALU_DEP_1)
	;; [unrolled: 3-line block ×3, first 2 shown]
	v_cndmask_b32_e64 v11, v11, v18, s11
	v_cndmask_b32_e64 v6, v11, v19, s12
	;; [unrolled: 1-line block ×3, first 2 shown]
	s_delay_alu instid0(VALU_DEP_2) | instskip(NEXT) | instid1(VALU_DEP_2)
	v_cndmask_b32_e64 v6, v6, v2, s13
	v_cmp_eq_u32_e64 s14, 2, v11
	s_delay_alu instid0(VALU_DEP_2)
	v_and_b32_e32 v6, 0xff, v6
	ds_swizzle_b32 v6, v6 offset:swizzle(SWAP,1)
	s_waitcnt lgkmcnt(0)
	v_cndmask_b32_e64 v7, v7, v6, s2
	v_cmp_eq_u32_e64 s2, 0, v9
	v_cndmask_b32_e32 v5, v5, v6, vcc_lo
	v_cndmask_b32_e64 v4, v4, v6, s0
	v_cndmask_b32_e64 v12, v12, v6, s3
	v_cmp_eq_u32_e64 s3, 3, v11
	v_cndmask_b32_e64 v9, v10, v6, s2
	v_cmp_eq_u32_e64 s2, 1, v11
	v_cndmask_b32_e64 v13, v13, v6, s4
	v_cndmask_b32_e64 v14, v14, v6, s5
	v_cmp_eq_u32_e64 s4, 6, v11
	v_cndmask_b32_e64 v15, v15, v6, s6
	;; [unrolled: 3-line block ×3, first 2 shown]
	v_cmp_eq_u32_e64 s6, 8, v11
	v_cndmask_b32_e64 v17, v17, v6, s8
	v_cndmask_b32_e64 v10, v10, v5, s14
	v_cmp_eq_u32_e64 s7, 9, v11
	v_cndmask_b32_e64 v1, v1, v6, s9
	v_cndmask_b32_e64 v0, v0, v6, s1
	v_cmp_eq_u32_e64 s1, 10, v11
	v_cndmask_b32_e64 v10, v10, v4, s3
	v_cmp_eq_u32_e64 s8, 11, v11
	v_cndmask_b32_e64 v3, v3, v6, s10
	v_cmp_eq_u32_e64 s9, 12, v11
	v_cndmask_b32_e64 v18, v18, v6, s11
	v_cndmask_b32_e32 v10, v10, v12, vcc_lo
	v_cmp_eq_u32_e64 s10, 13, v11
	v_cndmask_b32_e64 v19, v19, v6, s12
	v_cmp_eq_u32_e64 s11, 14, v11
	v_cndmask_b32_e64 v2, v2, v6, s13
	v_cndmask_b32_e64 v10, v10, v13, s0
	v_cmp_eq_u32_e64 s12, 15, v11
	s_delay_alu instid0(VALU_DEP_2) | instskip(NEXT) | instid1(VALU_DEP_1)
	v_cndmask_b32_e64 v10, v10, v14, s4
	v_cndmask_b32_e64 v10, v10, v15, s5
	s_delay_alu instid0(VALU_DEP_1) | instskip(NEXT) | instid1(VALU_DEP_1)
	v_cndmask_b32_e64 v10, v10, v16, s6
	v_cndmask_b32_e64 v10, v10, v17, s7
	s_delay_alu instid0(VALU_DEP_1) | instskip(NEXT) | instid1(VALU_DEP_1)
	;; [unrolled: 3-line block ×3, first 2 shown]
	v_cndmask_b32_e64 v10, v10, v3, s9
	v_cndmask_b32_e64 v10, v10, v18, s10
	s_delay_alu instid0(VALU_DEP_1) | instskip(SKIP_1) | instid1(VALU_DEP_2)
	v_cndmask_b32_e64 v6, v10, v19, s11
	v_cndmask_b32_e64 v10, 6, 7, s0
	;; [unrolled: 1-line block ×3, first 2 shown]
	s_delay_alu instid0(VALU_DEP_2) | instskip(NEXT) | instid1(VALU_DEP_2)
	v_cmp_eq_u32_e64 s13, 3, v10
	v_and_b32_e32 v6, 0xff, v6
	ds_swizzle_b32 v6, v6 offset:swizzle(SWAP,1)
	s_waitcnt lgkmcnt(0)
	v_cndmask_b32_e64 v7, v7, v6, s2
	v_cmp_eq_u32_e64 s2, 0, v11
	v_cndmask_b32_e64 v5, v5, v6, s14
	v_cndmask_b32_e64 v4, v4, v6, s3
	v_cmp_eq_u32_e64 s3, 2, v10
	v_cndmask_b32_e32 v12, v12, v6, vcc_lo
	v_cndmask_b32_e64 v9, v9, v6, s2
	v_cmp_eq_u32_e64 s2, 1, v10
	v_cmp_eq_u32_e64 s14, 4, v10
	v_cndmask_b32_e64 v13, v13, v6, s0
	v_cndmask_b32_e64 v14, v14, v6, s4
	v_cmp_eq_u32_e64 s4, 5, v10
	v_cndmask_b32_e64 v11, v9, v7, s2
	v_cndmask_b32_e64 v15, v15, v6, s5
	;; [unrolled: 1-line block ×3, first 2 shown]
	v_cmp_eq_u32_e64 s5, 8, v10
	v_cndmask_b32_e64 v17, v17, v6, s7
	v_cndmask_b32_e64 v11, v11, v5, s3
	;; [unrolled: 1-line block ×3, first 2 shown]
	v_cmp_eq_u32_e64 s1, 9, v10
	v_cmp_eq_u32_e64 s6, 10, v10
	v_cndmask_b32_e64 v0, v0, v6, s8
	v_cndmask_b32_e64 v11, v11, v4, s13
	v_cmp_eq_u32_e64 s7, 11, v10
	v_cndmask_b32_e64 v3, v3, v6, s9
	v_cmp_eq_u32_e64 s8, 12, v10
	v_cndmask_b32_e64 v18, v18, v6, s10
	v_cndmask_b32_e64 v11, v11, v12, s14
	v_cmp_eq_u32_e64 s9, 13, v10
	v_cndmask_b32_e64 v19, v19, v6, s11
	v_cmp_eq_u32_e64 s10, 14, v10
	v_cndmask_b32_e64 v2, v2, v6, s12
	v_cndmask_b32_e64 v11, v11, v13, s4
	v_cmp_eq_u32_e64 s11, 15, v10
	s_delay_alu instid0(VALU_DEP_2) | instskip(NEXT) | instid1(VALU_DEP_1)
	v_cndmask_b32_e32 v11, v11, v14, vcc_lo
	v_cndmask_b32_e64 v11, v11, v15, s0
	s_delay_alu instid0(VALU_DEP_1) | instskip(NEXT) | instid1(VALU_DEP_1)
	v_cndmask_b32_e64 v11, v11, v16, s5
	v_cndmask_b32_e64 v11, v11, v17, s1
	s_delay_alu instid0(VALU_DEP_1) | instskip(NEXT) | instid1(VALU_DEP_1)
	v_cndmask_b32_e64 v11, v11, v1, s6
	;; [unrolled: 3-line block ×3, first 2 shown]
	v_cndmask_b32_e64 v11, v11, v18, s9
	s_delay_alu instid0(VALU_DEP_1) | instskip(SKIP_1) | instid1(VALU_DEP_2)
	v_cndmask_b32_e64 v6, v11, v19, s10
	v_cndmask_b32_e64 v11, 8, 9, s0
	;; [unrolled: 1-line block ×3, first 2 shown]
	s_delay_alu instid0(VALU_DEP_2) | instskip(NEXT) | instid1(VALU_DEP_2)
	v_cmp_eq_u32_e64 s12, 3, v11
	v_and_b32_e32 v6, 0xff, v6
	ds_swizzle_b32 v6, v6 offset:swizzle(SWAP,1)
	s_waitcnt lgkmcnt(0)
	v_cndmask_b32_e64 v7, v7, v6, s2
	v_cmp_eq_u32_e64 s2, 0, v10
	v_cndmask_b32_e64 v5, v5, v6, s3
	v_cmp_eq_u32_e64 s3, 2, v11
	v_cndmask_b32_e64 v4, v4, v6, s13
	v_cndmask_b32_e64 v12, v12, v6, s14
	;; [unrolled: 1-line block ×3, first 2 shown]
	v_cmp_eq_u32_e64 s2, 1, v11
	v_cndmask_b32_e64 v13, v13, v6, s4
	v_cmp_eq_u32_e64 s4, 4, v11
	v_cmp_eq_u32_e64 s13, 5, v11
	v_cndmask_b32_e32 v14, v14, v6, vcc_lo
	v_cndmask_b32_e64 v10, v9, v7, s2
	v_cmp_eq_u32_e64 s14, 6, v11
	v_cndmask_b32_e64 v15, v15, v6, s0
	v_cndmask_b32_e64 v16, v16, v6, s5
	v_cmp_eq_u32_e64 s5, 7, v11
	v_cndmask_b32_e64 v10, v10, v5, s3
	v_cndmask_b32_e64 v17, v17, v6, s1
	;; [unrolled: 1-line block ×3, first 2 shown]
	v_cmp_eq_u32_e64 s1, 10, v11
	v_cndmask_b32_e64 v0, v0, v6, s7
	v_cndmask_b32_e64 v10, v10, v4, s12
	v_cmp_eq_u32_e64 s6, 11, v11
	v_cndmask_b32_e64 v3, v3, v6, s8
	v_cmp_eq_u32_e64 s7, 12, v11
	v_cndmask_b32_e64 v18, v18, v6, s9
	v_cndmask_b32_e64 v10, v10, v12, s4
	v_cmp_eq_u32_e64 s8, 13, v11
	v_cndmask_b32_e64 v19, v19, v6, s10
	v_cmp_eq_u32_e64 s9, 14, v11
	v_cndmask_b32_e64 v2, v2, v6, s11
	v_cndmask_b32_e64 v10, v10, v13, s13
	v_cmp_eq_u32_e64 s10, 15, v11
	s_delay_alu instid0(VALU_DEP_2) | instskip(NEXT) | instid1(VALU_DEP_1)
	v_cndmask_b32_e64 v10, v10, v14, s14
	v_cndmask_b32_e64 v10, v10, v15, s5
	s_delay_alu instid0(VALU_DEP_1) | instskip(NEXT) | instid1(VALU_DEP_1)
	v_cndmask_b32_e32 v10, v10, v16, vcc_lo
	v_cndmask_b32_e64 v10, v10, v17, s0
	s_delay_alu instid0(VALU_DEP_1) | instskip(NEXT) | instid1(VALU_DEP_1)
	v_cndmask_b32_e64 v10, v10, v1, s1
	v_cndmask_b32_e64 v10, v10, v0, s6
	s_delay_alu instid0(VALU_DEP_1) | instskip(NEXT) | instid1(VALU_DEP_1)
	v_cndmask_b32_e64 v10, v10, v3, s7
	v_cndmask_b32_e64 v10, v10, v18, s8
	s_delay_alu instid0(VALU_DEP_1) | instskip(SKIP_1) | instid1(VALU_DEP_2)
	v_cndmask_b32_e64 v6, v10, v19, s9
	v_cndmask_b32_e64 v10, 10, 11, s0
	;; [unrolled: 1-line block ×3, first 2 shown]
	s_delay_alu instid0(VALU_DEP_2) | instskip(NEXT) | instid1(VALU_DEP_2)
	v_cmp_eq_u32_e64 s11, 4, v10
	v_and_b32_e32 v6, 0xff, v6
	ds_swizzle_b32 v6, v6 offset:swizzle(SWAP,1)
	s_waitcnt lgkmcnt(0)
	v_cndmask_b32_e64 v7, v7, v6, s2
	v_cmp_eq_u32_e64 s2, 0, v11
	v_cndmask_b32_e64 v5, v5, v6, s3
	v_cmp_eq_u32_e64 s3, 2, v10
	v_cndmask_b32_e64 v4, v4, v6, s12
	v_cndmask_b32_e64 v12, v12, v6, s4
	;; [unrolled: 1-line block ×3, first 2 shown]
	v_cmp_eq_u32_e64 s2, 1, v10
	v_cmp_eq_u32_e64 s4, 3, v10
	v_cndmask_b32_e64 v13, v13, v6, s13
	v_cmp_eq_u32_e64 s12, 5, v10
	v_cndmask_b32_e64 v14, v14, v6, s14
	v_cndmask_b32_e64 v11, v9, v7, s2
	;; [unrolled: 1-line block ×3, first 2 shown]
	v_cmp_eq_u32_e64 s5, 6, v10
	v_cmp_eq_u32_e64 s13, 7, v10
	v_cndmask_b32_e32 v16, v16, v6, vcc_lo
	v_cndmask_b32_e64 v11, v11, v5, s3
	v_cmp_eq_u32_e64 s14, 8, v10
	v_cndmask_b32_e64 v17, v17, v6, s0
	v_cndmask_b32_e64 v1, v1, v6, s1
	v_cmp_eq_u32_e64 s1, 9, v10
	v_cndmask_b32_e64 v11, v11, v4, s4
	v_cndmask_b32_e64 v0, v0, v6, s6
	;; [unrolled: 1-line block ×3, first 2 shown]
	v_cmp_eq_u32_e64 s6, 12, v10
	v_cndmask_b32_e64 v18, v18, v6, s8
	v_cndmask_b32_e64 v11, v11, v12, s11
	v_cmp_eq_u32_e64 s7, 13, v10
	v_cndmask_b32_e64 v19, v19, v6, s9
	v_cmp_eq_u32_e64 s8, 14, v10
	v_cndmask_b32_e64 v2, v2, v6, s10
	v_cndmask_b32_e64 v11, v11, v13, s12
	v_cmp_eq_u32_e64 s9, 15, v10
	s_delay_alu instid0(VALU_DEP_2) | instskip(NEXT) | instid1(VALU_DEP_1)
	v_cndmask_b32_e64 v11, v11, v14, s5
	v_cndmask_b32_e64 v11, v11, v15, s13
	s_delay_alu instid0(VALU_DEP_1) | instskip(NEXT) | instid1(VALU_DEP_1)
	v_cndmask_b32_e64 v11, v11, v16, s14
	v_cndmask_b32_e64 v11, v11, v17, s1
	s_delay_alu instid0(VALU_DEP_1) | instskip(NEXT) | instid1(VALU_DEP_1)
	v_cndmask_b32_e32 v11, v11, v1, vcc_lo
	v_cndmask_b32_e64 v11, v11, v0, s0
	s_delay_alu instid0(VALU_DEP_1) | instskip(NEXT) | instid1(VALU_DEP_1)
	v_cndmask_b32_e64 v11, v11, v3, s6
	v_cndmask_b32_e64 v11, v11, v18, s7
	s_delay_alu instid0(VALU_DEP_1) | instskip(SKIP_1) | instid1(VALU_DEP_2)
	v_cndmask_b32_e64 v6, v11, v19, s8
	v_cndmask_b32_e64 v11, 12, 13, s0
	;; [unrolled: 1-line block ×3, first 2 shown]
	s_delay_alu instid0(VALU_DEP_2) | instskip(NEXT) | instid1(VALU_DEP_2)
	v_cmp_eq_u32_e64 s10, 4, v11
	v_and_b32_e32 v6, 0xff, v6
	ds_swizzle_b32 v6, v6 offset:swizzle(SWAP,1)
	s_waitcnt lgkmcnt(0)
	v_cndmask_b32_e64 v7, v7, v6, s2
	v_cmp_eq_u32_e64 s2, 0, v10
	v_cndmask_b32_e64 v5, v5, v6, s3
	v_cmp_eq_u32_e64 s3, 2, v11
	;; [unrolled: 2-line block ×4, first 2 shown]
	v_cndmask_b32_e64 v12, v12, v6, s11
	v_cndmask_b32_e64 v13, v13, v6, s12
	;; [unrolled: 1-line block ×3, first 2 shown]
	v_cmp_eq_u32_e64 s5, 5, v11
	v_cndmask_b32_e64 v10, v9, v7, s2
	v_cmp_eq_u32_e64 s11, 6, v11
	v_cndmask_b32_e64 v15, v15, v6, s13
	;; [unrolled: 2-line block ×3, first 2 shown]
	v_cndmask_b32_e64 v10, v10, v5, s3
	v_cndmask_b32_e64 v17, v17, v6, s1
	v_cmp_eq_u32_e64 s1, 8, v11
	v_cmp_eq_u32_e64 s13, 9, v11
	v_cndmask_b32_e32 v1, v1, v6, vcc_lo
	v_cndmask_b32_e64 v10, v10, v4, s4
	v_cmp_eq_u32_e64 s14, 10, v11
	v_cndmask_b32_e64 v0, v0, v6, s0
	v_cndmask_b32_e64 v3, v3, v6, s6
	v_cmp_eq_u32_e64 s6, 11, v11
	v_cndmask_b32_e64 v10, v10, v12, s10
	v_cndmask_b32_e64 v18, v18, v6, s7
	v_cndmask_b32_e64 v19, v19, v6, s8
	v_cmp_eq_u32_e64 s7, 14, v11
	v_cndmask_b32_e64 v2, v2, v6, s9
	v_cndmask_b32_e64 v10, v10, v13, s5
	v_cmp_eq_u32_e64 s8, 15, v11
	s_delay_alu instid0(VALU_DEP_2) | instskip(NEXT) | instid1(VALU_DEP_1)
	v_cndmask_b32_e64 v10, v10, v14, s11
	v_cndmask_b32_e64 v10, v10, v15, s12
	s_delay_alu instid0(VALU_DEP_1) | instskip(NEXT) | instid1(VALU_DEP_1)
	v_cndmask_b32_e64 v10, v10, v16, s1
	v_cndmask_b32_e64 v10, v10, v17, s13
	s_delay_alu instid0(VALU_DEP_1) | instskip(NEXT) | instid1(VALU_DEP_1)
	;; [unrolled: 3-line block ×3, first 2 shown]
	v_cndmask_b32_e32 v10, v10, v3, vcc_lo
	v_cndmask_b32_e64 v10, v10, v18, s0
	s_delay_alu instid0(VALU_DEP_1) | instskip(SKIP_1) | instid1(VALU_DEP_2)
	v_cndmask_b32_e64 v6, v10, v19, s7
	v_cndmask_b32_e64 v10, 14, 15, s0
	;; [unrolled: 1-line block ×3, first 2 shown]
	s_delay_alu instid0(VALU_DEP_2) | instskip(NEXT) | instid1(VALU_DEP_2)
	v_cmp_eq_u32_e64 s9, 5, v10
	v_and_b32_e32 v6, 0xff, v6
	ds_swizzle_b32 v6, v6 offset:swizzle(SWAP,1)
	s_waitcnt lgkmcnt(0)
	v_cndmask_b32_e64 v7, v7, v6, s2
	v_cmp_eq_u32_e64 s2, 0, v11
	v_cndmask_b32_e64 v5, v5, v6, s3
	v_cmp_eq_u32_e64 s3, 2, v10
	;; [unrolled: 2-line block ×4, first 2 shown]
	v_cndmask_b32_e64 v12, v12, v6, s10
	v_cndmask_b32_e64 v13, v13, v6, s5
	v_cmp_eq_u32_e64 s5, 4, v10
	v_cndmask_b32_e64 v14, v14, v6, s11
	v_cndmask_b32_e64 v11, v9, v7, s2
	v_cmp_eq_u32_e64 s10, 6, v10
	;; [unrolled: 3-line block ×3, first 2 shown]
	v_cndmask_b32_e64 v11, v11, v5, s3
	v_cmp_eq_u32_e64 s11, 8, v10
	v_cndmask_b32_e64 v17, v17, v6, s13
	v_cmp_eq_u32_e64 s12, 9, v10
	v_cndmask_b32_e64 v1, v1, v6, s14
	v_cndmask_b32_e64 v11, v11, v4, s4
	;; [unrolled: 1-line block ×3, first 2 shown]
	v_cmp_eq_u32_e64 s6, 10, v10
	v_cmp_eq_u32_e64 s13, 11, v10
	v_cndmask_b32_e32 v3, v3, v6, vcc_lo
	v_cndmask_b32_e64 v11, v11, v12, s5
	v_cmp_eq_u32_e64 s14, 12, v10
	v_cndmask_b32_e64 v18, v18, v6, s0
	v_cndmask_b32_e64 v19, v19, v6, s7
	v_cmp_eq_u32_e64 s7, 13, v10
	v_cndmask_b32_e64 v11, v11, v13, s9
	v_cndmask_b32_e64 v2, v2, v6, s8
	s_delay_alu instid0(VALU_DEP_2) | instskip(NEXT) | instid1(VALU_DEP_1)
	v_cndmask_b32_e64 v11, v11, v14, s10
	v_cndmask_b32_e64 v11, v11, v15, s1
	s_delay_alu instid0(VALU_DEP_1) | instskip(NEXT) | instid1(VALU_DEP_1)
	v_cndmask_b32_e64 v11, v11, v16, s11
	v_cndmask_b32_e64 v11, v11, v17, s12
	s_delay_alu instid0(VALU_DEP_1) | instskip(NEXT) | instid1(VALU_DEP_1)
	;; [unrolled: 3-line block ×4, first 2 shown]
	v_cndmask_b32_e32 v6, v11, v19, vcc_lo
	v_cndmask_b32_e64 v6, v6, v2, s0
	s_delay_alu instid0(VALU_DEP_1)
	v_and_b32_e32 v6, 0xff, v6
	ds_swizzle_b32 v6, v6 offset:swizzle(SWAP,1)
	s_waitcnt lgkmcnt(0)
	v_cndmask_b32_e64 v11, v18, v6, s7
	v_cndmask_b32_e32 v18, v19, v6, vcc_lo
	v_cmp_eq_u32_e32 vcc_lo, 0, v10
	v_cndmask_b32_e64 v3, v3, v6, s14
	v_cndmask_b32_e64 v2, v2, v6, s0
	;; [unrolled: 1-line block ×11, first 2 shown]
	v_cndmask_b32_e32 v9, v9, v6, vcc_lo
	v_cndmask_b32_e64 v4, v4, v6, s4
	v_cndmask_b32_e64 v5, v5, v6, s3
	v_lshlrev_b16 v6, 8, v11
	v_and_b32_e32 v3, 0xff, v3
	v_lshlrev_b16 v2, 8, v2
	v_and_b32_e32 v10, 0xff, v18
	v_lshlrev_b16 v11, 8, v17
	v_and_b32_e32 v16, 0xff, v16
	v_lshlrev_b16 v0, 8, v0
	v_and_b32_e32 v1, 0xff, v1
	v_lshlrev_b16 v13, 8, v13
	v_and_b32_e32 v12, 0xff, v12
	v_lshlrev_b16 v15, 8, v15
	v_and_b32_e32 v14, 0xff, v14
	v_lshlrev_b16 v7, 8, v7
	v_and_b32_e32 v9, 0xff, v9
	v_lshlrev_b16 v4, 8, v4
	v_and_b32_e32 v5, 0xff, v5
	v_or_b32_e32 v3, v3, v6
	v_or_b32_e32 v2, v10, v2
	;; [unrolled: 1-line block ×8, first 2 shown]
	v_and_b32_e32 v3, 0xffff, v3
	v_lshlrev_b32_e32 v2, 16, v2
	v_and_b32_e32 v5, 0xffff, v6
	v_lshlrev_b32_e32 v0, 16, v0
	v_lshlrev_b32_e32 v4, 16, v4
	v_and_b32_e32 v1, 0xffff, v1
	v_lshlrev_b32_e32 v9, 16, v10
	v_and_b32_e32 v10, 0xffff, v7
	v_or_b32_e32 v7, v3, v2
	v_or_b32_e32 v6, v5, v0
	s_delay_alu instid0(VALU_DEP_4) | instskip(NEXT) | instid1(VALU_DEP_4)
	v_or_b32_e32 v5, v1, v9
	v_or_b32_e32 v4, v10, v4
.LBB39_4:
	v_add_co_u32 v0, s0, s98, v8
	s_delay_alu instid0(VALU_DEP_1)
	v_add_co_ci_u32_e64 v1, null, s99, 0, s0
	global_store_b128 v[0:1], v[4:7], off
	s_nop 0
	s_sendmsg sendmsg(MSG_DEALLOC_VGPRS)
	s_endpgm
	.section	.rodata,"a",@progbits
	.p2align	6, 0x0
	.amdhsa_kernel _Z20warp_exchange_kernelILj16ELj16EN6common25BlockedToStripedShuffleOpEaEvPT2_S3_b
		.amdhsa_group_segment_fixed_size 0
		.amdhsa_private_segment_fixed_size 0
		.amdhsa_kernarg_size 20
		.amdhsa_user_sgpr_count 15
		.amdhsa_user_sgpr_dispatch_ptr 0
		.amdhsa_user_sgpr_queue_ptr 0
		.amdhsa_user_sgpr_kernarg_segment_ptr 1
		.amdhsa_user_sgpr_dispatch_id 0
		.amdhsa_user_sgpr_private_segment_size 0
		.amdhsa_wavefront_size32 1
		.amdhsa_uses_dynamic_stack 0
		.amdhsa_enable_private_segment 0
		.amdhsa_system_sgpr_workgroup_id_x 1
		.amdhsa_system_sgpr_workgroup_id_y 0
		.amdhsa_system_sgpr_workgroup_id_z 0
		.amdhsa_system_sgpr_workgroup_info 0
		.amdhsa_system_vgpr_workitem_id 0
		.amdhsa_next_free_vgpr 41
		.amdhsa_next_free_sgpr 100
		.amdhsa_reserve_vcc 1
		.amdhsa_float_round_mode_32 0
		.amdhsa_float_round_mode_16_64 0
		.amdhsa_float_denorm_mode_32 3
		.amdhsa_float_denorm_mode_16_64 3
		.amdhsa_dx10_clamp 1
		.amdhsa_ieee_mode 1
		.amdhsa_fp16_overflow 0
		.amdhsa_workgroup_processor_mode 1
		.amdhsa_memory_ordered 1
		.amdhsa_forward_progress 0
		.amdhsa_shared_vgpr_count 0
		.amdhsa_exception_fp_ieee_invalid_op 0
		.amdhsa_exception_fp_denorm_src 0
		.amdhsa_exception_fp_ieee_div_zero 0
		.amdhsa_exception_fp_ieee_overflow 0
		.amdhsa_exception_fp_ieee_underflow 0
		.amdhsa_exception_fp_ieee_inexact 0
		.amdhsa_exception_int_div_zero 0
	.end_amdhsa_kernel
	.section	.text._Z20warp_exchange_kernelILj16ELj16EN6common25BlockedToStripedShuffleOpEaEvPT2_S3_b,"axG",@progbits,_Z20warp_exchange_kernelILj16ELj16EN6common25BlockedToStripedShuffleOpEaEvPT2_S3_b,comdat
.Lfunc_end39:
	.size	_Z20warp_exchange_kernelILj16ELj16EN6common25BlockedToStripedShuffleOpEaEvPT2_S3_b, .Lfunc_end39-_Z20warp_exchange_kernelILj16ELj16EN6common25BlockedToStripedShuffleOpEaEvPT2_S3_b
                                        ; -- End function
	.section	.AMDGPU.csdata,"",@progbits
; Kernel info:
; codeLenInByte = 25956
; NumSgprs: 102
; NumVgprs: 41
; ScratchSize: 0
; MemoryBound: 0
; FloatMode: 240
; IeeeMode: 1
; LDSByteSize: 0 bytes/workgroup (compile time only)
; SGPRBlocks: 12
; VGPRBlocks: 5
; NumSGPRsForWavesPerEU: 102
; NumVGPRsForWavesPerEU: 41
; Occupancy: 16
; WaveLimiterHint : 0
; COMPUTE_PGM_RSRC2:SCRATCH_EN: 0
; COMPUTE_PGM_RSRC2:USER_SGPR: 15
; COMPUTE_PGM_RSRC2:TRAP_HANDLER: 0
; COMPUTE_PGM_RSRC2:TGID_X_EN: 1
; COMPUTE_PGM_RSRC2:TGID_Y_EN: 0
; COMPUTE_PGM_RSRC2:TGID_Z_EN: 0
; COMPUTE_PGM_RSRC2:TIDIG_COMP_CNT: 0
	.section	.text._Z20warp_exchange_kernelILj8ELj8EN6common25BlockedToStripedShuffleOpEiEvPT2_S3_b,"axG",@progbits,_Z20warp_exchange_kernelILj8ELj8EN6common25BlockedToStripedShuffleOpEiEvPT2_S3_b,comdat
	.protected	_Z20warp_exchange_kernelILj8ELj8EN6common25BlockedToStripedShuffleOpEiEvPT2_S3_b ; -- Begin function _Z20warp_exchange_kernelILj8ELj8EN6common25BlockedToStripedShuffleOpEiEvPT2_S3_b
	.globl	_Z20warp_exchange_kernelILj8ELj8EN6common25BlockedToStripedShuffleOpEiEvPT2_S3_b
	.p2align	8
	.type	_Z20warp_exchange_kernelILj8ELj8EN6common25BlockedToStripedShuffleOpEiEvPT2_S3_b,@function
_Z20warp_exchange_kernelILj8ELj8EN6common25BlockedToStripedShuffleOpEiEvPT2_S3_b: ; @_Z20warp_exchange_kernelILj8ELj8EN6common25BlockedToStripedShuffleOpEiEvPT2_S3_b
; %bb.0:
	s_load_b128 s[4:7], s[2:3], 0x0
	v_and_b32_e32 v9, 0x3ff, v0
	s_load_b64 s[0:1], s[0:1], 0x4
	s_load_b32 s2, s[2:3], 0x10
	v_bfe_u32 v10, v0, 10, 10
	v_mbcnt_lo_u32_b32 v11, -1, 0
	v_lshlrev_b32_e32 v1, 5, v9
	v_bfe_u32 v0, v0, 20, 10
	s_waitcnt lgkmcnt(0)
	s_clause 0x1
	global_load_b128 v[5:8], v1, s[4:5]
	global_load_b128 v[1:4], v1, s[4:5] offset:16
	v_and_b32_e32 v13, 4, v11
	s_lshr_b32 s0, s0, 16
	v_mul_u32_u24_e32 v10, s1, v10
	s_mul_i32 s0, s0, s1
	v_and_b32_e32 v19, 2, v11
	v_mul_lo_u32 v12, s0, v9
	v_lshlrev_b32_e32 v14, 2, v13
	v_cmp_eq_u32_e32 vcc_lo, 0, v13
	v_and_b32_e32 v18, 1, v11
	s_and_b32 s0, s2, 1
	s_delay_alu instid0(VALU_DEP_3)
	v_xor_b32_e32 v23, 16, v14
	v_cndmask_b32_e64 v22, 4, 20, vcc_lo
	v_add3_u32 v10, v12, v10, v0
	v_lshlrev_b32_e32 v0, 3, v9
	v_cndmask_b32_e64 v21, 8, 24, vcc_lo
	v_cndmask_b32_e64 v20, 12, 28, vcc_lo
	s_cmp_eq_u32 s0, 0
	v_lshlrev_b32_e32 v17, 5, v10
	s_mov_b32 s0, -1
	s_cbranch_scc0 .LBB40_2
; %bb.1:
	s_delay_alu instid0(VALU_DEP_1)
	v_or_b32_e32 v9, v17, v23
	s_waitcnt vmcnt(1)
	ds_store_b128 v17, v[5:8]
	s_waitcnt vmcnt(0)
	ds_store_b128 v17, v[1:4] offset:16
	v_or_b32_e32 v11, v17, v22
	v_cmp_eq_u32_e32 vcc_lo, 0, v19
	ds_load_b32 v10, v9
	v_cndmask_b32_e64 v14, 16, 24, vcc_lo
	v_cndmask_b32_e64 v13, 4, 12, vcc_lo
	s_delay_alu instid0(VALU_DEP_2)
	v_or_b32_e32 v14, v17, v14
	s_waitcnt lgkmcnt(0)
	ds_swizzle_b32 v10, v10 offset:swizzle(SWAP,4)
	s_waitcnt lgkmcnt(0)
	ds_store_b32 v9, v10
	ds_load_b32 v9, v11
	v_or_b32_e32 v10, v17, v21
	s_waitcnt lgkmcnt(0)
	ds_swizzle_b32 v9, v9 offset:swizzle(SWAP,4)
	s_waitcnt lgkmcnt(0)
	ds_store_b32 v11, v9
	ds_load_b32 v9, v10
	;; [unrolled: 6-line block ×3, first 2 shown]
	v_lshlrev_b32_e32 v10, 2, v19
	s_delay_alu instid0(VALU_DEP_1) | instskip(NEXT) | instid1(VALU_DEP_1)
	v_xor_b32_e32 v10, 8, v10
	v_or_b32_e32 v10, v17, v10
	ds_load_b32 v12, v10
	s_waitcnt lgkmcnt(1)
	ds_swizzle_b32 v9, v9 offset:swizzle(SWAP,4)
	s_waitcnt lgkmcnt(1)
	ds_swizzle_b32 v12, v12 offset:swizzle(SWAP,2)
	s_waitcnt lgkmcnt(1)
	ds_store_b32 v11, v9
	ds_load_b32 v9, v14
	v_or_b32_e32 v11, v17, v13
	v_lshlrev_b32_e32 v13, 2, v18
	s_delay_alu instid0(VALU_DEP_1) | instskip(NEXT) | instid1(VALU_DEP_1)
	v_xor_b32_e32 v13, 4, v13
	v_or_b32_e32 v13, v17, v13
	s_waitcnt lgkmcnt(2)
	ds_store_b32 v10, v12
	ds_load_b32 v10, v11
	v_cndmask_b32_e64 v12, 20, 28, vcc_lo
	v_cmp_eq_u32_e32 vcc_lo, 0, v18
	s_waitcnt lgkmcnt(2)
	ds_swizzle_b32 v9, v9 offset:swizzle(SWAP,2)
	v_or_b32_e32 v12, v17, v12
	v_cndmask_b32_e64 v15, 16, 20, vcc_lo
	v_cndmask_b32_e64 v16, 24, 28, vcc_lo
	s_delay_alu instid0(VALU_DEP_2) | instskip(NEXT) | instid1(VALU_DEP_2)
	v_or_b32_e32 v15, v17, v15
	v_or_b32_e32 v16, v17, v16
	s_waitcnt lgkmcnt(0)
	ds_store_b32 v14, v9
	ds_load_b32 v9, v12
	ds_swizzle_b32 v10, v10 offset:swizzle(SWAP,2)
	v_cndmask_b32_e64 v14, 8, 12, vcc_lo
	s_delay_alu instid0(VALU_DEP_1)
	v_or_b32_e32 v14, v17, v14
	s_waitcnt lgkmcnt(1)
	ds_swizzle_b32 v9, v9 offset:swizzle(SWAP,2)
	s_waitcnt lgkmcnt(1)
	ds_store_b32 v11, v10
	ds_load_b32 v10, v13
	ds_load_b32 v11, v14
	s_waitcnt lgkmcnt(3)
	ds_store_b32 v12, v9
	s_waitcnt lgkmcnt(2)
	ds_swizzle_b32 v10, v10 offset:swizzle(SWAP,1)
	s_waitcnt lgkmcnt(2)
	ds_swizzle_b32 v11, v11 offset:swizzle(SWAP,1)
	ds_load_b32 v24, v15
	ds_load_b32 v25, v16
	s_waitcnt lgkmcnt(3)
	ds_store_b32 v13, v10
	s_waitcnt lgkmcnt(3)
	ds_store_b32 v14, v11
	s_waitcnt lgkmcnt(3)
	ds_swizzle_b32 v13, v24 offset:swizzle(SWAP,1)
	s_waitcnt lgkmcnt(3)
	ds_swizzle_b32 v14, v25 offset:swizzle(SWAP,1)
	ds_load_b128 v[9:12], v17
	s_waitcnt lgkmcnt(2)
	ds_store_b32 v15, v13
	s_waitcnt lgkmcnt(2)
	ds_store_b32 v16, v14
	ds_load_b128 v[13:16], v17 offset:16
	s_cbranch_execz .LBB40_3
	s_branch .LBB40_4
.LBB40_2:
                                        ; implicit-def: $vgpr16
                                        ; implicit-def: $vgpr12
	s_and_not1_b32 vcc_lo, exec_lo, s0
	s_cbranch_vccnz .LBB40_4
.LBB40_3:
	s_waitcnt lgkmcnt(3)
	v_add_nc_u32_e32 v9, 0x8000, v17
	s_waitcnt vmcnt(1)
	ds_store_b128 v17, v[5:8] offset:32768
	s_waitcnt vmcnt(0)
	ds_store_b128 v17, v[1:4] offset:32784
	v_cmp_eq_u32_e32 vcc_lo, 0, v19
	v_or_b32_e32 v10, v9, v23
	v_or_b32_e32 v2, v9, v22
	;; [unrolled: 1-line block ×3, first 2 shown]
	v_cndmask_b32_e64 v6, 16, 24, vcc_lo
	v_cndmask_b32_e64 v5, 4, 12, vcc_lo
	ds_load_b32 v1, v10
	v_or_b32_e32 v6, v9, v6
	s_waitcnt lgkmcnt(0)
	ds_swizzle_b32 v1, v1 offset:swizzle(SWAP,4)
	s_waitcnt lgkmcnt(0)
	ds_store_b32 v10, v1
	ds_load_b32 v1, v2
	s_waitcnt lgkmcnt(0)
	ds_swizzle_b32 v1, v1 offset:swizzle(SWAP,4)
	s_waitcnt lgkmcnt(0)
	ds_store_b32 v2, v1
	ds_load_b32 v1, v3
	v_or_b32_e32 v2, v9, v20
	s_waitcnt lgkmcnt(0)
	ds_swizzle_b32 v1, v1 offset:swizzle(SWAP,4)
	s_waitcnt lgkmcnt(0)
	ds_store_b32 v3, v1
	ds_load_b32 v1, v2
	v_lshlrev_b32_e32 v3, 2, v19
	s_delay_alu instid0(VALU_DEP_1) | instskip(NEXT) | instid1(VALU_DEP_1)
	v_xor_b32_e32 v3, 8, v3
	v_or_b32_e32 v3, v9, v3
	ds_load_b32 v4, v3
	s_waitcnt lgkmcnt(1)
	ds_swizzle_b32 v1, v1 offset:swizzle(SWAP,4)
	s_waitcnt lgkmcnt(1)
	ds_swizzle_b32 v4, v4 offset:swizzle(SWAP,2)
	s_waitcnt lgkmcnt(1)
	ds_store_b32 v2, v1
	ds_load_b32 v1, v6
	v_or_b32_e32 v2, v9, v5
	v_lshlrev_b32_e32 v5, 2, v18
	s_delay_alu instid0(VALU_DEP_1) | instskip(NEXT) | instid1(VALU_DEP_1)
	v_xor_b32_e32 v5, 4, v5
	v_or_b32_e32 v5, v9, v5
	s_waitcnt lgkmcnt(0)
	ds_swizzle_b32 v1, v1 offset:swizzle(SWAP,2)
	ds_store_b32 v3, v4
	ds_load_b32 v3, v2
	v_cndmask_b32_e64 v4, 20, 28, vcc_lo
	v_cmp_eq_u32_e32 vcc_lo, 0, v18
	s_delay_alu instid0(VALU_DEP_2) | instskip(SKIP_2) | instid1(VALU_DEP_2)
	v_or_b32_e32 v4, v9, v4
	v_cndmask_b32_e64 v7, 16, 20, vcc_lo
	v_cndmask_b32_e64 v8, 24, 28, vcc_lo
	v_or_b32_e32 v7, v9, v7
	s_delay_alu instid0(VALU_DEP_2)
	v_or_b32_e32 v8, v9, v8
	s_waitcnt lgkmcnt(2)
	ds_store_b32 v6, v1
	ds_load_b32 v1, v4
	s_waitcnt lgkmcnt(2)
	ds_swizzle_b32 v3, v3 offset:swizzle(SWAP,2)
	v_cndmask_b32_e64 v6, 8, 12, vcc_lo
	s_delay_alu instid0(VALU_DEP_1)
	v_or_b32_e32 v6, v9, v6
	s_waitcnt lgkmcnt(1)
	ds_swizzle_b32 v1, v1 offset:swizzle(SWAP,2)
	s_waitcnt lgkmcnt(1)
	ds_store_b32 v2, v3
	ds_load_b32 v2, v5
	ds_load_b32 v3, v6
	s_waitcnt lgkmcnt(3)
	ds_store_b32 v4, v1
	s_waitcnt lgkmcnt(2)
	ds_swizzle_b32 v2, v2 offset:swizzle(SWAP,1)
	ds_load_b32 v1, v7
	ds_load_b32 v4, v8
	s_waitcnt lgkmcnt(4)
	ds_swizzle_b32 v3, v3 offset:swizzle(SWAP,1)
	s_waitcnt lgkmcnt(3)
	ds_store_b32 v5, v2
	s_waitcnt lgkmcnt(1)
	ds_store_b32 v6, v3
	ds_swizzle_b32 v1, v1 offset:swizzle(SWAP,1)
	ds_swizzle_b32 v2, v4 offset:swizzle(SWAP,1)
	ds_load_b128 v[9:12], v17 offset:32768
	s_waitcnt lgkmcnt(2)
	ds_store_b32 v7, v1
	s_waitcnt lgkmcnt(2)
	ds_store_b32 v8, v2
	ds_load_b128 v[13:16], v17 offset:32784
.LBB40_4:
	v_lshlrev_b32_e32 v0, 2, v0
	s_waitcnt lgkmcnt(3)
	global_store_b128 v0, v[9:12], s[6:7]
	s_waitcnt lgkmcnt(0)
	global_store_b128 v0, v[13:16], s[6:7] offset:16
	s_nop 0
	s_sendmsg sendmsg(MSG_DEALLOC_VGPRS)
	s_endpgm
	.section	.rodata,"a",@progbits
	.p2align	6, 0x0
	.amdhsa_kernel _Z20warp_exchange_kernelILj8ELj8EN6common25BlockedToStripedShuffleOpEiEvPT2_S3_b
		.amdhsa_group_segment_fixed_size 65536
		.amdhsa_private_segment_fixed_size 0
		.amdhsa_kernarg_size 20
		.amdhsa_user_sgpr_count 15
		.amdhsa_user_sgpr_dispatch_ptr 1
		.amdhsa_user_sgpr_queue_ptr 0
		.amdhsa_user_sgpr_kernarg_segment_ptr 1
		.amdhsa_user_sgpr_dispatch_id 0
		.amdhsa_user_sgpr_private_segment_size 0
		.amdhsa_wavefront_size32 1
		.amdhsa_uses_dynamic_stack 0
		.amdhsa_enable_private_segment 0
		.amdhsa_system_sgpr_workgroup_id_x 1
		.amdhsa_system_sgpr_workgroup_id_y 0
		.amdhsa_system_sgpr_workgroup_id_z 0
		.amdhsa_system_sgpr_workgroup_info 0
		.amdhsa_system_vgpr_workitem_id 2
		.amdhsa_next_free_vgpr 26
		.amdhsa_next_free_sgpr 8
		.amdhsa_reserve_vcc 1
		.amdhsa_float_round_mode_32 0
		.amdhsa_float_round_mode_16_64 0
		.amdhsa_float_denorm_mode_32 3
		.amdhsa_float_denorm_mode_16_64 3
		.amdhsa_dx10_clamp 1
		.amdhsa_ieee_mode 1
		.amdhsa_fp16_overflow 0
		.amdhsa_workgroup_processor_mode 1
		.amdhsa_memory_ordered 1
		.amdhsa_forward_progress 0
		.amdhsa_shared_vgpr_count 0
		.amdhsa_exception_fp_ieee_invalid_op 0
		.amdhsa_exception_fp_denorm_src 0
		.amdhsa_exception_fp_ieee_div_zero 0
		.amdhsa_exception_fp_ieee_overflow 0
		.amdhsa_exception_fp_ieee_underflow 0
		.amdhsa_exception_fp_ieee_inexact 0
		.amdhsa_exception_int_div_zero 0
	.end_amdhsa_kernel
	.section	.text._Z20warp_exchange_kernelILj8ELj8EN6common25BlockedToStripedShuffleOpEiEvPT2_S3_b,"axG",@progbits,_Z20warp_exchange_kernelILj8ELj8EN6common25BlockedToStripedShuffleOpEiEvPT2_S3_b,comdat
.Lfunc_end40:
	.size	_Z20warp_exchange_kernelILj8ELj8EN6common25BlockedToStripedShuffleOpEiEvPT2_S3_b, .Lfunc_end40-_Z20warp_exchange_kernelILj8ELj8EN6common25BlockedToStripedShuffleOpEiEvPT2_S3_b
                                        ; -- End function
	.section	.AMDGPU.csdata,"",@progbits
; Kernel info:
; codeLenInByte = 1372
; NumSgprs: 10
; NumVgprs: 26
; ScratchSize: 0
; MemoryBound: 0
; FloatMode: 240
; IeeeMode: 1
; LDSByteSize: 65536 bytes/workgroup (compile time only)
; SGPRBlocks: 1
; VGPRBlocks: 3
; NumSGPRsForWavesPerEU: 10
; NumVGPRsForWavesPerEU: 26
; Occupancy: 16
; WaveLimiterHint : 0
; COMPUTE_PGM_RSRC2:SCRATCH_EN: 0
; COMPUTE_PGM_RSRC2:USER_SGPR: 15
; COMPUTE_PGM_RSRC2:TRAP_HANDLER: 0
; COMPUTE_PGM_RSRC2:TGID_X_EN: 1
; COMPUTE_PGM_RSRC2:TGID_Y_EN: 0
; COMPUTE_PGM_RSRC2:TGID_Z_EN: 0
; COMPUTE_PGM_RSRC2:TIDIG_COMP_CNT: 2
	.section	.text._Z20warp_exchange_kernelILj4ELj8EN6common25BlockedToStripedShuffleOpE12hip_bfloat16EvPT2_S4_b,"axG",@progbits,_Z20warp_exchange_kernelILj4ELj8EN6common25BlockedToStripedShuffleOpE12hip_bfloat16EvPT2_S4_b,comdat
	.protected	_Z20warp_exchange_kernelILj4ELj8EN6common25BlockedToStripedShuffleOpE12hip_bfloat16EvPT2_S4_b ; -- Begin function _Z20warp_exchange_kernelILj4ELj8EN6common25BlockedToStripedShuffleOpE12hip_bfloat16EvPT2_S4_b
	.globl	_Z20warp_exchange_kernelILj4ELj8EN6common25BlockedToStripedShuffleOpE12hip_bfloat16EvPT2_S4_b
	.p2align	8
	.type	_Z20warp_exchange_kernelILj4ELj8EN6common25BlockedToStripedShuffleOpE12hip_bfloat16EvPT2_S4_b,@function
_Z20warp_exchange_kernelILj4ELj8EN6common25BlockedToStripedShuffleOpE12hip_bfloat16EvPT2_S4_b: ; @_Z20warp_exchange_kernelILj4ELj8EN6common25BlockedToStripedShuffleOpE12hip_bfloat16EvPT2_S4_b
; %bb.0:
	s_load_b128 s[4:7], s[2:3], 0x0
	v_and_b32_e32 v3, 0x3ff, v0
	s_load_b64 s[0:1], s[0:1], 0x4
	s_load_b32 s2, s[2:3], 0x10
	v_bfe_u32 v5, v0, 10, 10
	v_mbcnt_lo_u32_b32 v4, -1, 0
	v_lshlrev_b32_e32 v1, 3, v3
	v_bfe_u32 v0, v0, 20, 10
	s_delay_alu instid0(VALU_DEP_3) | instskip(SKIP_2) | instid1(VALU_DEP_3)
	v_and_b32_e32 v9, 3, v4
	v_add_nc_u32_e32 v8, -1, v4
	v_lshlrev_b32_e32 v10, 2, v4
	v_xor_b32_e32 v11, 2, v9
	s_delay_alu instid0(VALU_DEP_3)
	v_and_b32_e32 v12, 3, v8
	s_waitcnt lgkmcnt(0)
	global_load_b64 v[1:2], v1, s[4:5]
	s_lshr_b32 s0, s0, 16
	v_mul_u32_u24_e32 v7, s1, v5
	s_mul_i32 s0, s0, s1
	v_bfe_u32 v5, v4, 2, 1
	v_mul_lo_u32 v6, s0, v3
	v_lshlrev_b32_e32 v4, 2, v3
	s_and_b32 s0, s2, 1
	s_delay_alu instid0(VALU_DEP_3) | instskip(SKIP_2) | instid1(VALU_DEP_3)
	v_xor_b32_e32 v8, 3, v5
	s_cmp_eq_u32 s0, 0
	s_mov_b32 s0, -1
	v_add3_u32 v0, v6, v7, v0
	v_xor_b32_e32 v7, 1, v5
	s_delay_alu instid0(VALU_DEP_2)
	v_lshlrev_b32_e32 v6, 3, v0
	s_waitcnt vmcnt(0)
	v_lshrrev_b32_e32 v13, 16, v1
	v_lshrrev_b32_e32 v14, 16, v2
	v_and_b32_e32 v15, 0xffff, v2
	s_cbranch_scc0 .LBB41_2
; %bb.1:
	v_add_nc_u32_e32 v0, -1, v11
	s_delay_alu instid0(VALU_DEP_2)
	v_mov_b32_dpp v2, v15 quad_perm:[2,3,0,1] row_mask:0xf bank_mask:0xf
	v_mov_b32_dpp v3, v14 quad_perm:[1,2,3,0] row_mask:0xf bank_mask:0xf
	v_mov_b32_dpp v17, v13 quad_perm:[3,0,1,2] row_mask:0xf bank_mask:0xf
	v_add_nc_u32_e32 v16, 0x2000, v6
	v_and_b32_e32 v0, 3, v0
	v_lshl_or_b32 v18, v7, 1, v6
	v_perm_b32 v3, v3, v2, 0x5040100
	v_perm_b32 v2, v17, v1, 0x5040100
	v_lshl_or_b32 v17, v12, 1, v16
	v_lshl_or_b32 v0, v0, 1, v16
	;; [unrolled: 1-line block ×3, first 2 shown]
	ds_store_b64 v6, v[2:3] offset:8192
	v_lshl_or_b32 v3, v11, 1, v16
	ds_load_u16 v0, v0
	ds_load_u16 v2, v17
	v_lshl_or_b32 v16, v9, 1, v16
	v_xor_b32_e32 v17, 16, v10
	ds_load_u16 v3, v3
	ds_load_u16 v16, v16
	s_waitcnt lgkmcnt(3)
	v_mov_b32_dpp v0, v0 quad_perm:[3,0,1,2] row_mask:0xf bank_mask:0xf
	s_waitcnt lgkmcnt(2)
	v_mov_b32_dpp v2, v2 quad_perm:[1,2,3,0] row_mask:0xf bank_mask:0xf
	s_waitcnt lgkmcnt(1)
	v_mov_b32_dpp v3, v3 quad_perm:[2,3,0,1] row_mask:0xf bank_mask:0xf
	v_and_b32_e32 v0, 0xffff, v0
	s_delay_alu instid0(VALU_DEP_3)
	v_and_b32_e32 v2, 0xffff, v2
	ds_bpermute_b32 v0, v17, v0
	ds_bpermute_b32 v2, v17, v2
	s_waitcnt lgkmcnt(1)
	v_perm_b32 v3, v0, v3, 0x5040100
	s_waitcnt lgkmcnt(0)
	v_perm_b32 v2, v2, v16, 0x5040100
	v_lshl_or_b32 v16, v5, 1, v6
	ds_store_b64 v6, v[2:3]
	ds_load_u16 v0, v16
	ds_load_u16 v2, v18
	;; [unrolled: 1-line block ×3, first 2 shown]
	s_waitcnt lgkmcnt(2)
	ds_load_u16_d16_hi v0, v16 offset:4
	s_waitcnt lgkmcnt(2)
	ds_bpermute_b32 v2, v17, v2
	s_waitcnt lgkmcnt(2)
	ds_bpermute_b32 v3, v17, v3
	s_cbranch_execz .LBB41_3
	s_branch .LBB41_4
.LBB41_2:
                                        ; implicit-def: $vgpr0
                                        ; implicit-def: $vgpr2_vgpr3
	s_and_not1_b32 vcc_lo, exec_lo, s0
	s_cbranch_vccnz .LBB41_4
.LBB41_3:
	s_waitcnt lgkmcnt(2)
	v_add_nc_u32_e32 v0, -1, v11
	s_waitcnt lgkmcnt(1)
	v_mov_b32_dpp v2, v15 quad_perm:[2,3,0,1] row_mask:0xf bank_mask:0xf
	v_mov_b32_dpp v14, v14 quad_perm:[1,2,3,0] row_mask:0xf bank_mask:0xf
	;; [unrolled: 1-line block ×3, first 2 shown]
	s_waitcnt lgkmcnt(0)
	v_add_nc_u32_e32 v3, 0x6000, v6
	v_and_b32_e32 v0, 3, v0
	v_perm_b32 v2, v14, v2, 0x5040100
	v_perm_b32 v1, v13, v1, 0x5040100
	s_delay_alu instid0(VALU_DEP_4) | instskip(NEXT) | instid1(VALU_DEP_4)
	v_lshl_or_b32 v12, v12, 1, v3
	v_lshl_or_b32 v0, v0, 1, v3
	ds_store_b64 v6, v[1:2] offset:24576
	v_lshl_or_b32 v2, v11, 1, v3
	ds_load_u16 v0, v0
	ds_load_u16 v1, v12
	v_lshl_or_b32 v3, v9, 1, v3
	v_xor_b32_e32 v9, 16, v10
	ds_load_u16 v2, v2
	ds_load_u16 v3, v3
	s_waitcnt lgkmcnt(3)
	v_mov_b32_dpp v0, v0 quad_perm:[3,0,1,2] row_mask:0xf bank_mask:0xf
	s_waitcnt lgkmcnt(2)
	v_mov_b32_dpp v1, v1 quad_perm:[1,2,3,0] row_mask:0xf bank_mask:0xf
	s_delay_alu instid0(VALU_DEP_2) | instskip(NEXT) | instid1(VALU_DEP_2)
	v_and_b32_e32 v0, 0xffff, v0
	v_and_b32_e32 v1, 0xffff, v1
	ds_bpermute_b32 v0, v9, v0
	ds_bpermute_b32 v10, v9, v1
	s_waitcnt lgkmcnt(3)
	v_mov_b32_dpp v1, v2 quad_perm:[2,3,0,1] row_mask:0xf bank_mask:0xf
	v_add_nc_u32_e32 v2, 0x4000, v6
	s_waitcnt lgkmcnt(1)
	s_delay_alu instid0(VALU_DEP_2)
	v_perm_b32 v1, v0, v1, 0x5040100
	s_waitcnt lgkmcnt(0)
	v_perm_b32 v0, v10, v3, 0x5040100
	v_lshl_or_b32 v3, v5, 1, v2
	v_lshl_or_b32 v5, v7, 1, v2
	;; [unrolled: 1-line block ×3, first 2 shown]
	ds_store_b64 v6, v[0:1] offset:16384
	ds_load_u16 v0, v3
	ds_load_u16 v1, v5
	;; [unrolled: 1-line block ×3, first 2 shown]
	s_waitcnt lgkmcnt(2)
	ds_load_u16_d16_hi v0, v3 offset:4
	s_waitcnt lgkmcnt(2)
	ds_bpermute_b32 v2, v9, v1
	s_waitcnt lgkmcnt(2)
	ds_bpermute_b32 v3, v9, v5
.LBB41_4:
	s_waitcnt lgkmcnt(0)
	v_perm_b32 v1, v3, v2, 0x5040100
	v_lshlrev_b32_e32 v2, 1, v4
	global_store_b64 v2, v[0:1], s[6:7]
	s_nop 0
	s_sendmsg sendmsg(MSG_DEALLOC_VGPRS)
	s_endpgm
	.section	.rodata,"a",@progbits
	.p2align	6, 0x0
	.amdhsa_kernel _Z20warp_exchange_kernelILj4ELj8EN6common25BlockedToStripedShuffleOpE12hip_bfloat16EvPT2_S4_b
		.amdhsa_group_segment_fixed_size 32768
		.amdhsa_private_segment_fixed_size 0
		.amdhsa_kernarg_size 20
		.amdhsa_user_sgpr_count 15
		.amdhsa_user_sgpr_dispatch_ptr 1
		.amdhsa_user_sgpr_queue_ptr 0
		.amdhsa_user_sgpr_kernarg_segment_ptr 1
		.amdhsa_user_sgpr_dispatch_id 0
		.amdhsa_user_sgpr_private_segment_size 0
		.amdhsa_wavefront_size32 1
		.amdhsa_uses_dynamic_stack 0
		.amdhsa_enable_private_segment 0
		.amdhsa_system_sgpr_workgroup_id_x 1
		.amdhsa_system_sgpr_workgroup_id_y 0
		.amdhsa_system_sgpr_workgroup_id_z 0
		.amdhsa_system_sgpr_workgroup_info 0
		.amdhsa_system_vgpr_workitem_id 2
		.amdhsa_next_free_vgpr 20
		.amdhsa_next_free_sgpr 8
		.amdhsa_reserve_vcc 1
		.amdhsa_float_round_mode_32 0
		.amdhsa_float_round_mode_16_64 0
		.amdhsa_float_denorm_mode_32 3
		.amdhsa_float_denorm_mode_16_64 3
		.amdhsa_dx10_clamp 1
		.amdhsa_ieee_mode 1
		.amdhsa_fp16_overflow 0
		.amdhsa_workgroup_processor_mode 1
		.amdhsa_memory_ordered 1
		.amdhsa_forward_progress 0
		.amdhsa_shared_vgpr_count 0
		.amdhsa_exception_fp_ieee_invalid_op 0
		.amdhsa_exception_fp_denorm_src 0
		.amdhsa_exception_fp_ieee_div_zero 0
		.amdhsa_exception_fp_ieee_overflow 0
		.amdhsa_exception_fp_ieee_underflow 0
		.amdhsa_exception_fp_ieee_inexact 0
		.amdhsa_exception_int_div_zero 0
	.end_amdhsa_kernel
	.section	.text._Z20warp_exchange_kernelILj4ELj8EN6common25BlockedToStripedShuffleOpE12hip_bfloat16EvPT2_S4_b,"axG",@progbits,_Z20warp_exchange_kernelILj4ELj8EN6common25BlockedToStripedShuffleOpE12hip_bfloat16EvPT2_S4_b,comdat
.Lfunc_end41:
	.size	_Z20warp_exchange_kernelILj4ELj8EN6common25BlockedToStripedShuffleOpE12hip_bfloat16EvPT2_S4_b, .Lfunc_end41-_Z20warp_exchange_kernelILj4ELj8EN6common25BlockedToStripedShuffleOpE12hip_bfloat16EvPT2_S4_b
                                        ; -- End function
	.section	.AMDGPU.csdata,"",@progbits
; Kernel info:
; codeLenInByte = 956
; NumSgprs: 10
; NumVgprs: 20
; ScratchSize: 0
; MemoryBound: 0
; FloatMode: 240
; IeeeMode: 1
; LDSByteSize: 32768 bytes/workgroup (compile time only)
; SGPRBlocks: 1
; VGPRBlocks: 2
; NumSGPRsForWavesPerEU: 10
; NumVGPRsForWavesPerEU: 20
; Occupancy: 16
; WaveLimiterHint : 0
; COMPUTE_PGM_RSRC2:SCRATCH_EN: 0
; COMPUTE_PGM_RSRC2:USER_SGPR: 15
; COMPUTE_PGM_RSRC2:TRAP_HANDLER: 0
; COMPUTE_PGM_RSRC2:TGID_X_EN: 1
; COMPUTE_PGM_RSRC2:TGID_Y_EN: 0
; COMPUTE_PGM_RSRC2:TGID_Z_EN: 0
; COMPUTE_PGM_RSRC2:TIDIG_COMP_CNT: 2
	.section	.text._Z20warp_exchange_kernelILj4ELj64EN6common25BlockedToStripedShuffleOpEdEvPT2_S3_b,"axG",@progbits,_Z20warp_exchange_kernelILj4ELj64EN6common25BlockedToStripedShuffleOpEdEvPT2_S3_b,comdat
	.protected	_Z20warp_exchange_kernelILj4ELj64EN6common25BlockedToStripedShuffleOpEdEvPT2_S3_b ; -- Begin function _Z20warp_exchange_kernelILj4ELj64EN6common25BlockedToStripedShuffleOpEdEvPT2_S3_b
	.globl	_Z20warp_exchange_kernelILj4ELj64EN6common25BlockedToStripedShuffleOpEdEvPT2_S3_b
	.p2align	8
	.type	_Z20warp_exchange_kernelILj4ELj64EN6common25BlockedToStripedShuffleOpEdEvPT2_S3_b,@function
_Z20warp_exchange_kernelILj4ELj64EN6common25BlockedToStripedShuffleOpEdEvPT2_S3_b: ; @_Z20warp_exchange_kernelILj4ELj64EN6common25BlockedToStripedShuffleOpEdEvPT2_S3_b
; %bb.0:
	s_endpgm
	.section	.rodata,"a",@progbits
	.p2align	6, 0x0
	.amdhsa_kernel _Z20warp_exchange_kernelILj4ELj64EN6common25BlockedToStripedShuffleOpEdEvPT2_S3_b
		.amdhsa_group_segment_fixed_size 0
		.amdhsa_private_segment_fixed_size 0
		.amdhsa_kernarg_size 20
		.amdhsa_user_sgpr_count 15
		.amdhsa_user_sgpr_dispatch_ptr 0
		.amdhsa_user_sgpr_queue_ptr 0
		.amdhsa_user_sgpr_kernarg_segment_ptr 1
		.amdhsa_user_sgpr_dispatch_id 0
		.amdhsa_user_sgpr_private_segment_size 0
		.amdhsa_wavefront_size32 1
		.amdhsa_uses_dynamic_stack 0
		.amdhsa_enable_private_segment 0
		.amdhsa_system_sgpr_workgroup_id_x 1
		.amdhsa_system_sgpr_workgroup_id_y 0
		.amdhsa_system_sgpr_workgroup_id_z 0
		.amdhsa_system_sgpr_workgroup_info 0
		.amdhsa_system_vgpr_workitem_id 0
		.amdhsa_next_free_vgpr 1
		.amdhsa_next_free_sgpr 1
		.amdhsa_reserve_vcc 0
		.amdhsa_float_round_mode_32 0
		.amdhsa_float_round_mode_16_64 0
		.amdhsa_float_denorm_mode_32 3
		.amdhsa_float_denorm_mode_16_64 3
		.amdhsa_dx10_clamp 1
		.amdhsa_ieee_mode 1
		.amdhsa_fp16_overflow 0
		.amdhsa_workgroup_processor_mode 1
		.amdhsa_memory_ordered 1
		.amdhsa_forward_progress 0
		.amdhsa_shared_vgpr_count 0
		.amdhsa_exception_fp_ieee_invalid_op 0
		.amdhsa_exception_fp_denorm_src 0
		.amdhsa_exception_fp_ieee_div_zero 0
		.amdhsa_exception_fp_ieee_overflow 0
		.amdhsa_exception_fp_ieee_underflow 0
		.amdhsa_exception_fp_ieee_inexact 0
		.amdhsa_exception_int_div_zero 0
	.end_amdhsa_kernel
	.section	.text._Z20warp_exchange_kernelILj4ELj64EN6common25BlockedToStripedShuffleOpEdEvPT2_S3_b,"axG",@progbits,_Z20warp_exchange_kernelILj4ELj64EN6common25BlockedToStripedShuffleOpEdEvPT2_S3_b,comdat
.Lfunc_end42:
	.size	_Z20warp_exchange_kernelILj4ELj64EN6common25BlockedToStripedShuffleOpEdEvPT2_S3_b, .Lfunc_end42-_Z20warp_exchange_kernelILj4ELj64EN6common25BlockedToStripedShuffleOpEdEvPT2_S3_b
                                        ; -- End function
	.section	.AMDGPU.csdata,"",@progbits
; Kernel info:
; codeLenInByte = 4
; NumSgprs: 0
; NumVgprs: 0
; ScratchSize: 0
; MemoryBound: 0
; FloatMode: 240
; IeeeMode: 1
; LDSByteSize: 0 bytes/workgroup (compile time only)
; SGPRBlocks: 0
; VGPRBlocks: 0
; NumSGPRsForWavesPerEU: 1
; NumVGPRsForWavesPerEU: 1
; Occupancy: 16
; WaveLimiterHint : 0
; COMPUTE_PGM_RSRC2:SCRATCH_EN: 0
; COMPUTE_PGM_RSRC2:USER_SGPR: 15
; COMPUTE_PGM_RSRC2:TRAP_HANDLER: 0
; COMPUTE_PGM_RSRC2:TGID_X_EN: 1
; COMPUTE_PGM_RSRC2:TGID_Y_EN: 0
; COMPUTE_PGM_RSRC2:TGID_Z_EN: 0
; COMPUTE_PGM_RSRC2:TIDIG_COMP_CNT: 0
	.section	.text._Z20warp_exchange_kernelILj4ELj32EN6common25BlockedToStripedShuffleOpEfEvPT2_S3_b,"axG",@progbits,_Z20warp_exchange_kernelILj4ELj32EN6common25BlockedToStripedShuffleOpEfEvPT2_S3_b,comdat
	.protected	_Z20warp_exchange_kernelILj4ELj32EN6common25BlockedToStripedShuffleOpEfEvPT2_S3_b ; -- Begin function _Z20warp_exchange_kernelILj4ELj32EN6common25BlockedToStripedShuffleOpEfEvPT2_S3_b
	.globl	_Z20warp_exchange_kernelILj4ELj32EN6common25BlockedToStripedShuffleOpEfEvPT2_S3_b
	.p2align	8
	.type	_Z20warp_exchange_kernelILj4ELj32EN6common25BlockedToStripedShuffleOpEfEvPT2_S3_b,@function
_Z20warp_exchange_kernelILj4ELj32EN6common25BlockedToStripedShuffleOpEfEvPT2_S3_b: ; @_Z20warp_exchange_kernelILj4ELj32EN6common25BlockedToStripedShuffleOpEfEvPT2_S3_b
; %bb.0:
	s_clause 0x1
	s_load_b128 s[4:7], s[0:1], 0x0
	s_load_b32 s3, s[0:1], 0x10
	v_lshlrev_b32_e32 v1, 4, v0
	v_mbcnt_lo_u32_b32 v5, -1, 0
	v_lshlrev_b32_e32 v0, 2, v0
	s_delay_alu instid0(VALU_DEP_2) | instskip(SKIP_2) | instid1(VALU_DEP_3)
	v_and_b32_e32 v6, 3, v5
	v_and_b32_e32 v9, 28, v5
	v_lshrrev_b32_e32 v5, 2, v5
	v_cmp_eq_u32_e64 s0, 3, v6
	v_cmp_eq_u32_e64 s1, 2, v6
	;; [unrolled: 1-line block ×3, first 2 shown]
	v_or_b32_e32 v11, 32, v9
	v_lshlrev_b32_e32 v10, 2, v5
	s_waitcnt lgkmcnt(0)
	global_load_b128 v[1:4], v1, s[4:5]
	s_bitcmp0_b32 s3, 0
	s_mov_b32 s3, -1
	s_cbranch_scc0 .LBB43_2
; %bb.1:
	s_waitcnt vmcnt(0)
	ds_bpermute_b32 v5, v9, v1
	ds_bpermute_b32 v6, v9, v2
	;; [unrolled: 1-line block ×4, first 2 shown]
	ds_bpermute_b32 v12, v9, v1 offset:64
	ds_bpermute_b32 v13, v9, v2 offset:64
	;; [unrolled: 1-line block ×4, first 2 shown]
	ds_bpermute_b32 v16, v9, v3
	ds_bpermute_b32 v17, v11, v3
	ds_bpermute_b32 v18, v9, v3 offset:64
	ds_bpermute_b32 v19, v10, v3 offset:96
	ds_bpermute_b32 v20, v9, v4
	ds_bpermute_b32 v21, v11, v4
	ds_bpermute_b32 v22, v9, v4 offset:64
	ds_bpermute_b32 v23, v10, v4 offset:96
	s_waitcnt lgkmcnt(14)
	v_cndmask_b32_e64 v5, v5, v6, s2
	s_waitcnt lgkmcnt(12)
	v_cndmask_b32_e64 v6, v7, v8, s2
	;; [unrolled: 2-line block ×12, first 2 shown]
	s_cbranch_execz .LBB43_3
	s_branch .LBB43_4
.LBB43_2:
                                        ; implicit-def: $vgpr5_vgpr6_vgpr7_vgpr8
	s_and_not1_b32 vcc_lo, exec_lo, s3
	s_cbranch_vccnz .LBB43_4
.LBB43_3:
	s_waitcnt vmcnt(0)
	ds_bpermute_b32 v5, v9, v1
	ds_bpermute_b32 v6, v9, v2
	;; [unrolled: 1-line block ×4, first 2 shown]
	ds_bpermute_b32 v12, v9, v1 offset:64
	ds_bpermute_b32 v13, v9, v2 offset:64
	;; [unrolled: 1-line block ×4, first 2 shown]
	ds_bpermute_b32 v14, v9, v3
	ds_bpermute_b32 v15, v11, v3
	ds_bpermute_b32 v16, v9, v3 offset:64
	ds_bpermute_b32 v3, v10, v3 offset:96
	ds_bpermute_b32 v17, v9, v4
	ds_bpermute_b32 v11, v11, v4
	ds_bpermute_b32 v9, v9, v4 offset:64
	ds_bpermute_b32 v4, v10, v4 offset:96
	s_waitcnt lgkmcnt(14)
	v_cndmask_b32_e64 v5, v5, v6, s2
	s_waitcnt lgkmcnt(12)
	v_cndmask_b32_e64 v6, v7, v8, s2
	;; [unrolled: 2-line block ×12, first 2 shown]
.LBB43_4:
	v_lshlrev_b32_e32 v0, 2, v0
	global_store_b128 v0, v[5:8], s[6:7]
	s_nop 0
	s_sendmsg sendmsg(MSG_DEALLOC_VGPRS)
	s_endpgm
	.section	.rodata,"a",@progbits
	.p2align	6, 0x0
	.amdhsa_kernel _Z20warp_exchange_kernelILj4ELj32EN6common25BlockedToStripedShuffleOpEfEvPT2_S3_b
		.amdhsa_group_segment_fixed_size 0
		.amdhsa_private_segment_fixed_size 0
		.amdhsa_kernarg_size 20
		.amdhsa_user_sgpr_count 15
		.amdhsa_user_sgpr_dispatch_ptr 0
		.amdhsa_user_sgpr_queue_ptr 0
		.amdhsa_user_sgpr_kernarg_segment_ptr 1
		.amdhsa_user_sgpr_dispatch_id 0
		.amdhsa_user_sgpr_private_segment_size 0
		.amdhsa_wavefront_size32 1
		.amdhsa_uses_dynamic_stack 0
		.amdhsa_enable_private_segment 0
		.amdhsa_system_sgpr_workgroup_id_x 1
		.amdhsa_system_sgpr_workgroup_id_y 0
		.amdhsa_system_sgpr_workgroup_id_z 0
		.amdhsa_system_sgpr_workgroup_info 0
		.amdhsa_system_vgpr_workitem_id 0
		.amdhsa_next_free_vgpr 24
		.amdhsa_next_free_sgpr 8
		.amdhsa_reserve_vcc 1
		.amdhsa_float_round_mode_32 0
		.amdhsa_float_round_mode_16_64 0
		.amdhsa_float_denorm_mode_32 3
		.amdhsa_float_denorm_mode_16_64 3
		.amdhsa_dx10_clamp 1
		.amdhsa_ieee_mode 1
		.amdhsa_fp16_overflow 0
		.amdhsa_workgroup_processor_mode 1
		.amdhsa_memory_ordered 1
		.amdhsa_forward_progress 0
		.amdhsa_shared_vgpr_count 0
		.amdhsa_exception_fp_ieee_invalid_op 0
		.amdhsa_exception_fp_denorm_src 0
		.amdhsa_exception_fp_ieee_div_zero 0
		.amdhsa_exception_fp_ieee_overflow 0
		.amdhsa_exception_fp_ieee_underflow 0
		.amdhsa_exception_fp_ieee_inexact 0
		.amdhsa_exception_int_div_zero 0
	.end_amdhsa_kernel
	.section	.text._Z20warp_exchange_kernelILj4ELj32EN6common25BlockedToStripedShuffleOpEfEvPT2_S3_b,"axG",@progbits,_Z20warp_exchange_kernelILj4ELj32EN6common25BlockedToStripedShuffleOpEfEvPT2_S3_b,comdat
.Lfunc_end43:
	.size	_Z20warp_exchange_kernelILj4ELj32EN6common25BlockedToStripedShuffleOpEfEvPT2_S3_b, .Lfunc_end43-_Z20warp_exchange_kernelILj4ELj32EN6common25BlockedToStripedShuffleOpEfEvPT2_S3_b
                                        ; -- End function
	.section	.AMDGPU.csdata,"",@progbits
; Kernel info:
; codeLenInByte = 700
; NumSgprs: 10
; NumVgprs: 24
; ScratchSize: 0
; MemoryBound: 0
; FloatMode: 240
; IeeeMode: 1
; LDSByteSize: 0 bytes/workgroup (compile time only)
; SGPRBlocks: 1
; VGPRBlocks: 2
; NumSGPRsForWavesPerEU: 10
; NumVGPRsForWavesPerEU: 24
; Occupancy: 16
; WaveLimiterHint : 0
; COMPUTE_PGM_RSRC2:SCRATCH_EN: 0
; COMPUTE_PGM_RSRC2:USER_SGPR: 15
; COMPUTE_PGM_RSRC2:TRAP_HANDLER: 0
; COMPUTE_PGM_RSRC2:TGID_X_EN: 1
; COMPUTE_PGM_RSRC2:TGID_Y_EN: 0
; COMPUTE_PGM_RSRC2:TGID_Z_EN: 0
; COMPUTE_PGM_RSRC2:TIDIG_COMP_CNT: 0
	.section	.text._Z20warp_exchange_kernelILj4ELj8EN6common25BlockedToStripedShuffleOpElEvPT2_S3_b,"axG",@progbits,_Z20warp_exchange_kernelILj4ELj8EN6common25BlockedToStripedShuffleOpElEvPT2_S3_b,comdat
	.protected	_Z20warp_exchange_kernelILj4ELj8EN6common25BlockedToStripedShuffleOpElEvPT2_S3_b ; -- Begin function _Z20warp_exchange_kernelILj4ELj8EN6common25BlockedToStripedShuffleOpElEvPT2_S3_b
	.globl	_Z20warp_exchange_kernelILj4ELj8EN6common25BlockedToStripedShuffleOpElEvPT2_S3_b
	.p2align	8
	.type	_Z20warp_exchange_kernelILj4ELj8EN6common25BlockedToStripedShuffleOpElEvPT2_S3_b,@function
_Z20warp_exchange_kernelILj4ELj8EN6common25BlockedToStripedShuffleOpElEvPT2_S3_b: ; @_Z20warp_exchange_kernelILj4ELj8EN6common25BlockedToStripedShuffleOpElEvPT2_S3_b
; %bb.0:
	s_load_b128 s[4:7], s[0:1], 0x0
	v_lshlrev_b32_e32 v1, 5, v0
	s_load_b32 s0, s[0:1], 0x10
	v_lshlrev_b32_e32 v0, 2, v0
	v_mbcnt_lo_u32_b32 v17, -1, 0
	s_waitcnt lgkmcnt(0)
	s_clause 0x1
	global_load_b128 v[5:8], v1, s[4:5] offset:16
	global_load_b128 v[1:4], v1, s[4:5]
	s_mov_b32 s4, 0
	s_bitcmp0_b32 s0, 0
	s_cbranch_scc0 .LBB44_2
; %bb.1:
	s_waitcnt vmcnt(0)
	v_mov_b32_dpp v11, v4 quad_perm:[3,0,1,2] row_mask:0xf bank_mask:0xf
	v_and_b32_e32 v10, 3, v17
	v_mov_b32_dpp v9, v3 quad_perm:[3,0,1,2] row_mask:0xf bank_mask:0xf
	v_mov_b32_dpp v16, v7 quad_perm:[1,2,3,0] row_mask:0xf bank_mask:0xf
	v_add_nc_u32_e32 v12, -1, v17
	v_mov_b32_dpp v13, v5 quad_perm:[2,3,0,1] row_mask:0xf bank_mask:0xf
	v_cmp_eq_u32_e32 vcc_lo, 1, v10
	v_mov_b32_dpp v14, v6 quad_perm:[2,3,0,1] row_mask:0xf bank_mask:0xf
	v_mov_b32_dpp v18, v8 quad_perm:[1,2,3,0] row_mask:0xf bank_mask:0xf
	v_dual_cndmask_b32 v15, v1, v9 :: v_dual_and_b32 v12, 3, v12
	v_cndmask_b32_e32 v19, v2, v11, vcc_lo
	v_cmp_eq_u32_e64 s0, 2, v10
	v_cmp_eq_u32_e64 s2, 3, v10
	s_delay_alu instid0(VALU_DEP_4)
	v_cmp_eq_u32_e64 s1, 1, v12
	v_xor_b32_e32 v10, 2, v10
	v_cmp_eq_u32_e32 vcc_lo, 2, v12
	v_cndmask_b32_e64 v15, v15, v13, s0
	v_cndmask_b32_e64 v19, v19, v14, s0
	;; [unrolled: 1-line block ×4, first 2 shown]
	v_cmp_eq_u32_e64 s0, 3, v12
	v_cmp_eq_u32_e64 s1, 2, v10
	;; [unrolled: 1-line block ×3, first 2 shown]
	v_cndmask_b32_e32 v20, v20, v14, vcc_lo
	v_cndmask_b32_e32 v12, v21, v13, vcc_lo
	v_cmp_eq_u32_e32 vcc_lo, 1, v10
	v_add_nc_u32_e32 v22, -1, v10
	v_cndmask_b32_e64 v19, v19, v18, s2
	v_cndmask_b32_e64 v20, v20, v18, s0
	;; [unrolled: 1-line block ×3, first 2 shown]
	s_delay_alu instid0(VALU_DEP_4) | instskip(SKIP_3) | instid1(VALU_DEP_4)
	v_and_b32_e32 v21, 3, v22
	v_cndmask_b32_e64 v12, v12, v16, s0
	v_cndmask_b32_e32 v22, v2, v11, vcc_lo
	v_mov_b32_dpp v20, v20 quad_perm:[1,2,3,0] row_mask:0xf bank_mask:0xf
	v_cmp_eq_u32_e64 s0, 1, v21
	s_delay_alu instid0(VALU_DEP_4) | instskip(NEXT) | instid1(VALU_DEP_4)
	v_mov_b32_dpp v12, v12 quad_perm:[1,2,3,0] row_mask:0xf bank_mask:0xf
	v_cndmask_b32_e64 v22, v22, v14, s1
	s_delay_alu instid0(VALU_DEP_3)
	v_cndmask_b32_e64 v10, v2, v11, s0
	v_lshlrev_b32_e32 v11, 2, v17
	v_cndmask_b32_e64 v23, v1, v9, s0
	v_cmp_eq_u32_e64 s0, 2, v21
	v_cndmask_b32_e32 v9, v1, v9, vcc_lo
	v_cmp_eq_u32_e32 vcc_lo, 3, v21
	v_xor_b32_e32 v24, 16, v11
	s_delay_alu instid0(VALU_DEP_4)
	v_cndmask_b32_e64 v10, v10, v14, s0
	v_cndmask_b32_e64 v11, v23, v13, s0
	;; [unrolled: 1-line block ×3, first 2 shown]
	ds_bpermute_b32 v14, v24, v20
	ds_bpermute_b32 v13, v24, v12
	v_dual_cndmask_b32 v10, v10, v18 :: v_dual_cndmask_b32 v11, v11, v16
	v_cndmask_b32_e64 v12, v22, v18, s3
	v_cndmask_b32_e64 v9, v9, v16, s3
	v_bfe_u32 v18, v17, 2, 1
	s_delay_alu instid0(VALU_DEP_4)
	v_mov_b32_dpp v10, v10 quad_perm:[3,0,1,2] row_mask:0xf bank_mask:0xf
	v_mov_b32_dpp v11, v11 quad_perm:[3,0,1,2] row_mask:0xf bank_mask:0xf
	v_and_b32_e32 v16, 4, v17
	v_mov_b32_dpp v20, v9 quad_perm:[2,3,0,1] row_mask:0xf bank_mask:0xf
	v_xor_b32_e32 v9, 3, v18
	ds_bpermute_b32 v22, v24, v10
	ds_bpermute_b32 v21, v24, v11
	v_cmp_ne_u32_e32 vcc_lo, 0, v16
	v_xor_b32_e32 v10, 1, v18
	v_cmp_eq_u32_e64 s0, 1, v9
	v_cmp_eq_u32_e64 s2, 3, v9
	s_waitcnt lgkmcnt(3)
	v_cndmask_b32_e32 v11, v14, v19, vcc_lo
	v_mov_b32_dpp v16, v12 quad_perm:[2,3,0,1] row_mask:0xf bank_mask:0xf
	v_cmp_eq_u32_e64 s1, 2, v10
	s_waitcnt lgkmcnt(2)
	v_cndmask_b32_e32 v12, v13, v15, vcc_lo
	v_cndmask_b32_e64 v25, v19, v14, s0
	v_cndmask_b32_e64 v26, v15, v13, s0
	v_cmp_eq_u32_e64 s0, 2, v9
	v_cndmask_b32_e64 v11, v11, v16, s1
	v_cndmask_b32_e64 v12, v12, v20, s1
	v_cmp_eq_u32_e64 s1, 3, v10
	v_cndmask_b32_e32 v23, v19, v14, vcc_lo
	v_cndmask_b32_e64 v25, v25, v16, s0
	v_cndmask_b32_e64 v9, v26, v20, s0
	v_or_b32_e32 v26, 2, v18
	s_waitcnt lgkmcnt(1)
	v_cndmask_b32_e64 v10, v11, v22, s1
	s_waitcnt lgkmcnt(0)
	v_cndmask_b32_e64 v11, v12, v21, s1
	v_cndmask_b32_e64 v12, v25, v22, s2
	;; [unrolled: 1-line block ×3, first 2 shown]
	v_cmp_eq_u32_e64 s1, 1, v26
	v_cmp_eq_u32_e64 s0, 2, v18
	ds_bpermute_b32 v9, v24, v11
	ds_bpermute_b32 v10, v24, v10
	;; [unrolled: 1-line block ×4, first 2 shown]
	v_cndmask_b32_e32 v24, v15, v13, vcc_lo
	v_cndmask_b32_e64 v14, v19, v14, s1
	v_cndmask_b32_e64 v13, v15, v13, s1
	v_cmp_eq_u32_e32 vcc_lo, 2, v26
	v_cndmask_b32_e64 v19, v23, v16, s0
	v_cndmask_b32_e64 v15, v24, v20, s0
	v_cmp_eq_u32_e64 s0, 3, v18
	v_cmp_eq_u32_e64 s1, 3, v26
	v_cndmask_b32_e32 v16, v14, v16, vcc_lo
	v_cndmask_b32_e32 v18, v13, v20, vcc_lo
	s_delay_alu instid0(VALU_DEP_4) | instskip(SKIP_1) | instid1(VALU_DEP_4)
	v_cndmask_b32_e64 v14, v19, v22, s0
	v_cndmask_b32_e64 v13, v15, v21, s0
	;; [unrolled: 1-line block ×3, first 2 shown]
	s_delay_alu instid0(VALU_DEP_4)
	v_cndmask_b32_e64 v15, v18, v21, s1
	s_and_not1_b32 vcc_lo, exec_lo, s4
	s_cbranch_vccz .LBB44_3
	s_branch .LBB44_4
.LBB44_2:
                                        ; implicit-def: $vgpr9_vgpr10
                                        ; implicit-def: $vgpr15_vgpr16
.LBB44_3:
	s_waitcnt vmcnt(0)
	v_mov_b32_dpp v4, v4 quad_perm:[3,0,1,2] row_mask:0xf bank_mask:0xf
	s_waitcnt lgkmcnt(3)
	v_and_b32_e32 v9, 3, v17
	v_mov_b32_dpp v3, v3 quad_perm:[3,0,1,2] row_mask:0xf bank_mask:0xf
	v_mov_b32_dpp v5, v5 quad_perm:[2,3,0,1] row_mask:0xf bank_mask:0xf
	;; [unrolled: 1-line block ×4, first 2 shown]
	v_cmp_eq_u32_e32 vcc_lo, 1, v9
	s_waitcnt lgkmcnt(2)
	v_add_nc_u32_e32 v10, -1, v17
	v_mov_b32_dpp v7, v7 quad_perm:[1,2,3,0] row_mask:0xf bank_mask:0xf
	s_waitcnt lgkmcnt(1)
	s_delay_alu instid0(VALU_DEP_2)
	v_dual_cndmask_b32 v11, v1, v3 :: v_dual_and_b32 v10, 3, v10
	s_waitcnt lgkmcnt(0)
	v_cndmask_b32_e32 v12, v2, v4, vcc_lo
	v_cmp_eq_u32_e64 s0, 2, v9
	v_cmp_eq_u32_e64 s2, 3, v9
	v_xor_b32_e32 v9, 2, v9
	v_cmp_eq_u32_e64 s1, 1, v10
	v_cmp_eq_u32_e32 vcc_lo, 2, v10
	v_cndmask_b32_e64 v11, v11, v5, s0
	v_cndmask_b32_e64 v12, v12, v6, s0
	v_add_nc_u32_e32 v15, -1, v9
	v_cndmask_b32_e64 v13, v2, v4, s1
	v_cndmask_b32_e64 v14, v1, v3, s1
	v_cmp_eq_u32_e64 s0, 3, v10
	v_cmp_eq_u32_e64 s1, 2, v9
	;; [unrolled: 1-line block ×3, first 2 shown]
	s_delay_alu instid0(VALU_DEP_4) | instskip(SKIP_2) | instid1(VALU_DEP_3)
	v_dual_cndmask_b32 v13, v13, v6 :: v_dual_cndmask_b32 v10, v14, v5
	v_and_b32_e32 v14, 3, v15
	v_cmp_eq_u32_e32 vcc_lo, 1, v9
	v_cndmask_b32_e64 v13, v13, v8, s0
	s_delay_alu instid0(VALU_DEP_4) | instskip(NEXT) | instid1(VALU_DEP_4)
	v_cndmask_b32_e64 v10, v10, v7, s0
	v_cmp_eq_u32_e64 s0, 1, v14
	v_cndmask_b32_e32 v15, v2, v4, vcc_lo
	s_delay_alu instid0(VALU_DEP_2)
	v_cndmask_b32_e64 v2, v2, v4, s0
	v_lshlrev_b32_e32 v4, 2, v17
	v_cndmask_b32_e64 v9, v1, v3, s0
	v_cndmask_b32_e32 v1, v1, v3, vcc_lo
	v_mov_b32_dpp v3, v13 quad_perm:[1,2,3,0] row_mask:0xf bank_mask:0xf
	v_cmp_eq_u32_e64 s0, 2, v14
	v_xor_b32_e32 v4, 16, v4
	v_cndmask_b32_e64 v15, v15, v6, s1
	v_cmp_eq_u32_e32 vcc_lo, 3, v14
	v_cndmask_b32_e64 v1, v1, v5, s1
	v_cndmask_b32_e64 v2, v2, v6, s0
	ds_bpermute_b32 v3, v4, v3
	v_cndmask_b32_e64 v6, v9, v5, s0
	v_mov_b32_dpp v9, v10 quad_perm:[1,2,3,0] row_mask:0xf bank_mask:0xf
	v_cndmask_b32_e64 v13, v11, v7, s2
	v_cndmask_b32_e64 v14, v12, v8, s2
	;; [unrolled: 1-line block ×3, first 2 shown]
	v_cndmask_b32_e32 v5, v6, v7, vcc_lo
	v_dual_cndmask_b32 v2, v2, v8 :: v_dual_and_b32 v7, 4, v17
	ds_bpermute_b32 v6, v4, v9
	v_cndmask_b32_e64 v8, v15, v8, s3
	v_bfe_u32 v15, v17, 2, 1
	v_cmp_ne_u32_e32 vcc_lo, 0, v7
	v_mov_b32_dpp v2, v2 quad_perm:[3,0,1,2] row_mask:0xf bank_mask:0xf
	v_mov_b32_dpp v1, v1 quad_perm:[2,3,0,1] row_mask:0xf bank_mask:0xf
	;; [unrolled: 1-line block ×3, first 2 shown]
	v_xor_b32_e32 v7, 3, v15
	v_xor_b32_e32 v9, 1, v15
	ds_bpermute_b32 v2, v4, v2
	s_waitcnt lgkmcnt(2)
	v_cndmask_b32_e32 v16, v14, v3, vcc_lo
	v_cndmask_b32_e32 v10, v3, v14, vcc_lo
	v_mov_b32_dpp v5, v5 quad_perm:[3,0,1,2] row_mask:0xf bank_mask:0xf
	v_cmp_eq_u32_e64 s0, 1, v7
	v_cmp_eq_u32_e64 s1, 2, v9
	;; [unrolled: 1-line block ×3, first 2 shown]
	ds_bpermute_b32 v5, v4, v5
	v_cndmask_b32_e64 v12, v14, v3, s0
	s_waitcnt lgkmcnt(2)
	v_cndmask_b32_e32 v11, v6, v13, vcc_lo
	v_cndmask_b32_e64 v17, v13, v6, s0
	v_cmp_eq_u32_e64 s0, 2, v7
	v_cndmask_b32_e64 v10, v10, v8, s1
	s_delay_alu instid0(VALU_DEP_4) | instskip(SKIP_1) | instid1(VALU_DEP_4)
	v_cndmask_b32_e64 v11, v11, v1, s1
	v_cmp_eq_u32_e64 s1, 3, v9
	v_cndmask_b32_e64 v12, v12, v8, s0
	v_cndmask_b32_e64 v7, v17, v1, s0
	v_or_b32_e32 v17, 2, v15
	v_cmp_eq_u32_e64 s0, 2, v15
	s_waitcnt lgkmcnt(1)
	v_cndmask_b32_e64 v10, v10, v2, s1
	v_cndmask_b32_e64 v12, v12, v2, s2
	ds_bpermute_b32 v10, v4, v10
	ds_bpermute_b32 v12, v4, v12
	s_waitcnt lgkmcnt(2)
	v_cndmask_b32_e64 v9, v11, v5, s1
	v_cndmask_b32_e64 v7, v7, v5, s2
	v_cmp_eq_u32_e64 s1, 1, v17
	ds_bpermute_b32 v9, v4, v9
	ds_bpermute_b32 v11, v4, v7
	v_cndmask_b32_e64 v3, v14, v3, s1
	v_cndmask_b32_e32 v4, v13, v6, vcc_lo
	v_cndmask_b32_e64 v6, v13, v6, s1
	v_cmp_eq_u32_e32 vcc_lo, 2, v17
	v_cndmask_b32_e64 v7, v16, v8, s0
	v_cmp_eq_u32_e64 s1, 3, v17
	v_cndmask_b32_e32 v3, v3, v8, vcc_lo
	v_cndmask_b32_e64 v4, v4, v1, s0
	v_cmp_eq_u32_e64 s0, 3, v15
	v_cndmask_b32_e32 v1, v6, v1, vcc_lo
	s_delay_alu instid0(VALU_DEP_4) | instskip(NEXT) | instid1(VALU_DEP_3)
	v_cndmask_b32_e64 v16, v3, v2, s1
	v_cndmask_b32_e64 v14, v7, v2, s0
	;; [unrolled: 1-line block ×3, first 2 shown]
	s_delay_alu instid0(VALU_DEP_4)
	v_cndmask_b32_e64 v15, v1, v5, s1
.LBB44_4:
	v_lshlrev_b32_e32 v0, 3, v0
	global_store_b128 v0, v[13:16], s[6:7]
	s_waitcnt lgkmcnt(0)
	global_store_b128 v0, v[9:12], s[6:7] offset:16
	s_nop 0
	s_sendmsg sendmsg(MSG_DEALLOC_VGPRS)
	s_endpgm
	.section	.rodata,"a",@progbits
	.p2align	6, 0x0
	.amdhsa_kernel _Z20warp_exchange_kernelILj4ELj8EN6common25BlockedToStripedShuffleOpElEvPT2_S3_b
		.amdhsa_group_segment_fixed_size 0
		.amdhsa_private_segment_fixed_size 0
		.amdhsa_kernarg_size 20
		.amdhsa_user_sgpr_count 15
		.amdhsa_user_sgpr_dispatch_ptr 0
		.amdhsa_user_sgpr_queue_ptr 0
		.amdhsa_user_sgpr_kernarg_segment_ptr 1
		.amdhsa_user_sgpr_dispatch_id 0
		.amdhsa_user_sgpr_private_segment_size 0
		.amdhsa_wavefront_size32 1
		.amdhsa_uses_dynamic_stack 0
		.amdhsa_enable_private_segment 0
		.amdhsa_system_sgpr_workgroup_id_x 1
		.amdhsa_system_sgpr_workgroup_id_y 0
		.amdhsa_system_sgpr_workgroup_id_z 0
		.amdhsa_system_sgpr_workgroup_info 0
		.amdhsa_system_vgpr_workitem_id 0
		.amdhsa_next_free_vgpr 27
		.amdhsa_next_free_sgpr 8
		.amdhsa_reserve_vcc 1
		.amdhsa_float_round_mode_32 0
		.amdhsa_float_round_mode_16_64 0
		.amdhsa_float_denorm_mode_32 3
		.amdhsa_float_denorm_mode_16_64 3
		.amdhsa_dx10_clamp 1
		.amdhsa_ieee_mode 1
		.amdhsa_fp16_overflow 0
		.amdhsa_workgroup_processor_mode 1
		.amdhsa_memory_ordered 1
		.amdhsa_forward_progress 0
		.amdhsa_shared_vgpr_count 0
		.amdhsa_exception_fp_ieee_invalid_op 0
		.amdhsa_exception_fp_denorm_src 0
		.amdhsa_exception_fp_ieee_div_zero 0
		.amdhsa_exception_fp_ieee_overflow 0
		.amdhsa_exception_fp_ieee_underflow 0
		.amdhsa_exception_fp_ieee_inexact 0
		.amdhsa_exception_int_div_zero 0
	.end_amdhsa_kernel
	.section	.text._Z20warp_exchange_kernelILj4ELj8EN6common25BlockedToStripedShuffleOpElEvPT2_S3_b,"axG",@progbits,_Z20warp_exchange_kernelILj4ELj8EN6common25BlockedToStripedShuffleOpElEvPT2_S3_b,comdat
.Lfunc_end44:
	.size	_Z20warp_exchange_kernelILj4ELj8EN6common25BlockedToStripedShuffleOpElEvPT2_S3_b, .Lfunc_end44-_Z20warp_exchange_kernelILj4ELj8EN6common25BlockedToStripedShuffleOpElEvPT2_S3_b
                                        ; -- End function
	.section	.AMDGPU.csdata,"",@progbits
; Kernel info:
; codeLenInByte = 1640
; NumSgprs: 10
; NumVgprs: 27
; ScratchSize: 0
; MemoryBound: 0
; FloatMode: 240
; IeeeMode: 1
; LDSByteSize: 0 bytes/workgroup (compile time only)
; SGPRBlocks: 1
; VGPRBlocks: 3
; NumSGPRsForWavesPerEU: 10
; NumVGPRsForWavesPerEU: 27
; Occupancy: 16
; WaveLimiterHint : 0
; COMPUTE_PGM_RSRC2:SCRATCH_EN: 0
; COMPUTE_PGM_RSRC2:USER_SGPR: 15
; COMPUTE_PGM_RSRC2:TRAP_HANDLER: 0
; COMPUTE_PGM_RSRC2:TGID_X_EN: 1
; COMPUTE_PGM_RSRC2:TGID_Y_EN: 0
; COMPUTE_PGM_RSRC2:TGID_Z_EN: 0
; COMPUTE_PGM_RSRC2:TIDIG_COMP_CNT: 0
	.section	.text._Z20warp_exchange_kernelILj2ELj32EN6common25BlockedToStripedShuffleOpEsEvPT2_S3_b,"axG",@progbits,_Z20warp_exchange_kernelILj2ELj32EN6common25BlockedToStripedShuffleOpEsEvPT2_S3_b,comdat
	.protected	_Z20warp_exchange_kernelILj2ELj32EN6common25BlockedToStripedShuffleOpEsEvPT2_S3_b ; -- Begin function _Z20warp_exchange_kernelILj2ELj32EN6common25BlockedToStripedShuffleOpEsEvPT2_S3_b
	.globl	_Z20warp_exchange_kernelILj2ELj32EN6common25BlockedToStripedShuffleOpEsEvPT2_S3_b
	.p2align	8
	.type	_Z20warp_exchange_kernelILj2ELj32EN6common25BlockedToStripedShuffleOpEsEvPT2_S3_b,@function
_Z20warp_exchange_kernelILj2ELj32EN6common25BlockedToStripedShuffleOpEsEvPT2_S3_b: ; @_Z20warp_exchange_kernelILj2ELj32EN6common25BlockedToStripedShuffleOpEsEvPT2_S3_b
; %bb.0:
	s_load_b128 s[4:7], s[0:1], 0x0
	v_lshlrev_b32_e32 v1, 2, v0
	s_load_b32 s1, s[0:1], 0x10
	v_lshlrev_b32_e32 v0, 1, v0
	s_waitcnt lgkmcnt(0)
	global_load_b32 v2, v1, s[4:5]
	v_mbcnt_lo_u32_b32 v1, -1, 0
	s_bitcmp0_b32 s1, 0
	s_mov_b32 s1, -1
	s_delay_alu instid0(VALU_DEP_1) | instskip(SKIP_1) | instid1(VALU_DEP_2)
	v_lshlrev_b32_e32 v3, 1, v1
	v_and_b32_e32 v1, 1, v1
	v_and_b32_e32 v3, 60, v3
	s_delay_alu instid0(VALU_DEP_2)
	v_cmp_eq_u32_e64 s0, 0, v1
	s_waitcnt vmcnt(0)
	v_lshrrev_b32_e32 v1, 16, v2
	v_and_b32_e32 v4, 0xffff, v2
	v_or_b32_e32 v2, 64, v3
	s_cbranch_scc0 .LBB45_2
; %bb.1:
	ds_bpermute_b32 v5, v3, v4
	ds_bpermute_b32 v6, v3, v1
	;; [unrolled: 1-line block ×3, first 2 shown]
	s_waitcnt lgkmcnt(1)
	v_bfi_b32 v8, 0xffff, v6, v5
	ds_bpermute_b32 v6, v2, v1
	v_cndmask_b32_e64 v5, v8, v5, s0
	s_waitcnt lgkmcnt(1)
	s_delay_alu instid0(VALU_DEP_1) | instskip(NEXT) | instid1(VALU_DEP_1)
	v_perm_b32 v5, v7, v5, 0x5040100
	v_cndmask_b32_e64 v7, v8, v5, s0
	s_cbranch_execz .LBB45_3
	s_branch .LBB45_4
.LBB45_2:
                                        ; implicit-def: $vgpr5
                                        ; implicit-def: $vgpr7
                                        ; implicit-def: $vgpr6
	s_and_not1_b32 vcc_lo, exec_lo, s1
	s_cbranch_vccnz .LBB45_4
.LBB45_3:
	ds_bpermute_b32 v5, v3, v4
	ds_bpermute_b32 v3, v3, v1
	;; [unrolled: 1-line block ×3, first 2 shown]
	s_waitcnt lgkmcnt(3)
	ds_bpermute_b32 v6, v2, v1
	s_waitcnt lgkmcnt(2)
	v_bfi_b32 v3, 0xffff, v3, v5
	s_delay_alu instid0(VALU_DEP_1) | instskip(SKIP_1) | instid1(VALU_DEP_1)
	v_cndmask_b32_e64 v1, v3, v5, s0
	s_waitcnt lgkmcnt(1)
	v_perm_b32 v5, v4, v1, 0x5040100
	s_delay_alu instid0(VALU_DEP_1)
	v_cndmask_b32_e64 v7, v3, v5, s0
.LBB45_4:
	s_waitcnt lgkmcnt(0)
	s_delay_alu instid0(VALU_DEP_1) | instskip(SKIP_1) | instid1(VALU_DEP_2)
	v_perm_b32 v1, v6, v7, 0x5040100
	v_lshlrev_b32_e32 v0, 1, v0
	v_cndmask_b32_e64 v1, v1, v5, s0
	global_store_b32 v0, v1, s[6:7]
	s_nop 0
	s_sendmsg sendmsg(MSG_DEALLOC_VGPRS)
	s_endpgm
	.section	.rodata,"a",@progbits
	.p2align	6, 0x0
	.amdhsa_kernel _Z20warp_exchange_kernelILj2ELj32EN6common25BlockedToStripedShuffleOpEsEvPT2_S3_b
		.amdhsa_group_segment_fixed_size 0
		.amdhsa_private_segment_fixed_size 0
		.amdhsa_kernarg_size 20
		.amdhsa_user_sgpr_count 15
		.amdhsa_user_sgpr_dispatch_ptr 0
		.amdhsa_user_sgpr_queue_ptr 0
		.amdhsa_user_sgpr_kernarg_segment_ptr 1
		.amdhsa_user_sgpr_dispatch_id 0
		.amdhsa_user_sgpr_private_segment_size 0
		.amdhsa_wavefront_size32 1
		.amdhsa_uses_dynamic_stack 0
		.amdhsa_enable_private_segment 0
		.amdhsa_system_sgpr_workgroup_id_x 1
		.amdhsa_system_sgpr_workgroup_id_y 0
		.amdhsa_system_sgpr_workgroup_id_z 0
		.amdhsa_system_sgpr_workgroup_info 0
		.amdhsa_system_vgpr_workitem_id 0
		.amdhsa_next_free_vgpr 9
		.amdhsa_next_free_sgpr 8
		.amdhsa_reserve_vcc 1
		.amdhsa_float_round_mode_32 0
		.amdhsa_float_round_mode_16_64 0
		.amdhsa_float_denorm_mode_32 3
		.amdhsa_float_denorm_mode_16_64 3
		.amdhsa_dx10_clamp 1
		.amdhsa_ieee_mode 1
		.amdhsa_fp16_overflow 0
		.amdhsa_workgroup_processor_mode 1
		.amdhsa_memory_ordered 1
		.amdhsa_forward_progress 0
		.amdhsa_shared_vgpr_count 0
		.amdhsa_exception_fp_ieee_invalid_op 0
		.amdhsa_exception_fp_denorm_src 0
		.amdhsa_exception_fp_ieee_div_zero 0
		.amdhsa_exception_fp_ieee_overflow 0
		.amdhsa_exception_fp_ieee_underflow 0
		.amdhsa_exception_fp_ieee_inexact 0
		.amdhsa_exception_int_div_zero 0
	.end_amdhsa_kernel
	.section	.text._Z20warp_exchange_kernelILj2ELj32EN6common25BlockedToStripedShuffleOpEsEvPT2_S3_b,"axG",@progbits,_Z20warp_exchange_kernelILj2ELj32EN6common25BlockedToStripedShuffleOpEsEvPT2_S3_b,comdat
.Lfunc_end45:
	.size	_Z20warp_exchange_kernelILj2ELj32EN6common25BlockedToStripedShuffleOpEsEvPT2_S3_b, .Lfunc_end45-_Z20warp_exchange_kernelILj2ELj32EN6common25BlockedToStripedShuffleOpEsEvPT2_S3_b
                                        ; -- End function
	.section	.AMDGPU.csdata,"",@progbits
; Kernel info:
; codeLenInByte = 348
; NumSgprs: 10
; NumVgprs: 9
; ScratchSize: 0
; MemoryBound: 0
; FloatMode: 240
; IeeeMode: 1
; LDSByteSize: 0 bytes/workgroup (compile time only)
; SGPRBlocks: 1
; VGPRBlocks: 1
; NumSGPRsForWavesPerEU: 10
; NumVGPRsForWavesPerEU: 9
; Occupancy: 16
; WaveLimiterHint : 0
; COMPUTE_PGM_RSRC2:SCRATCH_EN: 0
; COMPUTE_PGM_RSRC2:USER_SGPR: 15
; COMPUTE_PGM_RSRC2:TRAP_HANDLER: 0
; COMPUTE_PGM_RSRC2:TGID_X_EN: 1
; COMPUTE_PGM_RSRC2:TGID_Y_EN: 0
; COMPUTE_PGM_RSRC2:TGID_Z_EN: 0
; COMPUTE_PGM_RSRC2:TIDIG_COMP_CNT: 0
	.section	.text._Z20warp_exchange_kernelILj4ELj16EN6common25BlockedToStripedShuffleOpEaEvPT2_S3_b,"axG",@progbits,_Z20warp_exchange_kernelILj4ELj16EN6common25BlockedToStripedShuffleOpEaEvPT2_S3_b,comdat
	.protected	_Z20warp_exchange_kernelILj4ELj16EN6common25BlockedToStripedShuffleOpEaEvPT2_S3_b ; -- Begin function _Z20warp_exchange_kernelILj4ELj16EN6common25BlockedToStripedShuffleOpEaEvPT2_S3_b
	.globl	_Z20warp_exchange_kernelILj4ELj16EN6common25BlockedToStripedShuffleOpEaEvPT2_S3_b
	.p2align	8
	.type	_Z20warp_exchange_kernelILj4ELj16EN6common25BlockedToStripedShuffleOpEaEvPT2_S3_b,@function
_Z20warp_exchange_kernelILj4ELj16EN6common25BlockedToStripedShuffleOpEaEvPT2_S3_b: ; @_Z20warp_exchange_kernelILj4ELj16EN6common25BlockedToStripedShuffleOpEaEvPT2_S3_b
; %bb.0:
	s_load_b128 s[4:7], s[0:1], 0x0
	v_lshlrev_b32_e32 v0, 2, v0
	v_mbcnt_lo_u32_b32 v1, -1, 0
	s_load_b32 s0, s[0:1], 0x10
	s_delay_alu instid0(VALU_DEP_1)
	v_and_b32_e32 v2, 3, v1
	v_add_nc_u32_e32 v3, 12, v1
	v_add_nc_u32_e32 v6, -1, v1
	v_and_b32_e32 v5, 16, v1
	v_bfe_u32 v16, v1, 2, 2
	v_xor_b32_e32 v9, 2, v2
	v_and_b32_e32 v10, 15, v3
	v_and_b32_e32 v12, 3, v6
	v_lshlrev_b32_e32 v6, 3, v2
	v_lshlrev_b32_e32 v7, 2, v1
	v_add_nc_u32_e32 v11, -1, v9
	v_or_b32_e32 v2, v10, v5
	v_add_nc_u32_e32 v8, 4, v1
	s_waitcnt lgkmcnt(0)
	global_load_b32 v4, v0, s[4:5]
	v_lshrrev_b32_e32 v3, 2, v1
	v_and_b32_e32 v10, 3, v11
	v_lshlrev_b32_e32 v1, 3, v16
	v_lshlrev_b32_e32 v11, 3, v12
	;; [unrolled: 1-line block ×5, first 2 shown]
	s_bitcmp0_b32 s0, 0
	s_mov_b32 s0, -1
	s_waitcnt vmcnt(0)
	v_lshrrev_b32_e32 v13, 24, v4
	v_bfe_u32 v15, v4, 8, 8
	v_bfe_u32 v14, v4, 16, 8
	v_and_b32_e32 v12, 0xff, v4
	v_xor_b32_e32 v4, 2, v16
	s_cbranch_scc0 .LBB46_2
; %bb.1:
	v_mov_b32_dpp v16, v15 quad_perm:[3,0,1,2] row_mask:0xf bank_mask:0xf
	v_mov_b32_dpp v17, v14 quad_perm:[2,3,0,1] row_mask:0xf bank_mask:0xf
	;; [unrolled: 1-line block ×3, first 2 shown]
	v_and_or_b32 v20, v8, 15, v5
	v_xor_b32_e32 v21, 32, v7
	v_lshlrev_b16 v16, 8, v16
	v_and_b32_e32 v17, 0xff, v17
	v_lshlrev_b16 v18, 8, v18
	v_lshlrev_b32_e32 v20, 2, v20
	v_add_nc_u32_e32 v22, -1, v3
	v_or_b32_e32 v16, v12, v16
	s_delay_alu instid0(VALU_DEP_4) | instskip(NEXT) | instid1(VALU_DEP_2)
	v_or_b32_e32 v17, v17, v18
	v_and_b32_e32 v16, 0xffff, v16
	s_delay_alu instid0(VALU_DEP_2) | instskip(NEXT) | instid1(VALU_DEP_1)
	v_lshlrev_b32_e32 v17, 16, v17
	v_or_b32_e32 v16, v16, v17
	s_delay_alu instid0(VALU_DEP_1) | instskip(SKIP_3) | instid1(VALU_DEP_4)
	v_bfe_u32 v17, v16, v11, 8
	v_bfe_u32 v18, v16, v10, 8
	;; [unrolled: 1-line block ×3, first 2 shown]
	v_lshrrev_b32_e32 v16, v6, v16
	v_mov_b32_dpp v17, v17 quad_perm:[1,2,3,0] row_mask:0xf bank_mask:0xf
	s_delay_alu instid0(VALU_DEP_4) | instskip(NEXT) | instid1(VALU_DEP_4)
	v_mov_b32_dpp v18, v18 quad_perm:[3,0,1,2] row_mask:0xf bank_mask:0xf
	v_mov_b32_dpp v19, v19 quad_perm:[2,3,0,1] row_mask:0xf bank_mask:0xf
	s_delay_alu instid0(VALU_DEP_4) | instskip(NEXT) | instid1(VALU_DEP_4)
	v_and_b32_e32 v16, 0xff, v16
	v_and_b32_e32 v17, 0xff, v17
	s_delay_alu instid0(VALU_DEP_4) | instskip(NEXT) | instid1(VALU_DEP_4)
	v_and_b32_e32 v18, 0xff, v18
	v_and_b32_e32 v19, 0xff, v19
	ds_bpermute_b32 v17, v2, v17
	ds_bpermute_b32 v18, v20, v18
	;; [unrolled: 1-line block ×3, first 2 shown]
	s_waitcnt lgkmcnt(2)
	v_lshlrev_b16 v17, 8, v17
	s_waitcnt lgkmcnt(1)
	v_lshlrev_b16 v18, 8, v18
	s_waitcnt lgkmcnt(0)
	v_and_b32_e32 v19, 0xff, v19
	v_or_b32_e32 v16, v16, v17
	s_delay_alu instid0(VALU_DEP_2) | instskip(SKIP_2) | instid1(VALU_DEP_4)
	v_or_b32_e32 v17, v19, v18
	v_add_nc_u32_e32 v18, -1, v4
	v_and_b32_e32 v19, 3, v22
	v_and_b32_e32 v16, 0xffff, v16
	s_delay_alu instid0(VALU_DEP_4) | instskip(NEXT) | instid1(VALU_DEP_4)
	v_lshlrev_b32_e32 v17, 16, v17
	v_and_b32_e32 v18, 3, v18
	s_delay_alu instid0(VALU_DEP_4) | instskip(NEXT) | instid1(VALU_DEP_3)
	v_lshlrev_b32_e32 v19, 3, v19
	v_or_b32_e32 v22, v16, v17
	v_lshlrev_b32_e32 v16, 3, v4
	s_delay_alu instid0(VALU_DEP_4) | instskip(NEXT) | instid1(VALU_DEP_3)
	v_lshlrev_b32_e32 v17, 3, v18
	v_bfe_u32 v18, v22, v19, 8
	s_delay_alu instid0(VALU_DEP_3) | instskip(NEXT) | instid1(VALU_DEP_3)
	v_bfe_u32 v16, v22, v16, 8
	v_bfe_u32 v19, v22, v17, 8
	ds_bpermute_b32 v17, v20, v18
	ds_bpermute_b32 v16, v21, v16
	;; [unrolled: 1-line block ×3, first 2 shown]
	v_lshrrev_b32_e32 v19, v1, v22
	s_cbranch_execz .LBB46_3
	s_branch .LBB46_4
.LBB46_2:
                                        ; implicit-def: $vgpr16
                                        ; implicit-def: $vgpr17
                                        ; implicit-def: $vgpr19
                                        ; implicit-def: $vgpr18
	s_and_not1_b32 vcc_lo, exec_lo, s0
	s_cbranch_vccnz .LBB46_4
.LBB46_3:
	v_mov_b32_dpp v15, v15 quad_perm:[3,0,1,2] row_mask:0xf bank_mask:0xf
	v_mov_b32_dpp v14, v14 quad_perm:[2,3,0,1] row_mask:0xf bank_mask:0xf
	;; [unrolled: 1-line block ×3, first 2 shown]
	v_and_or_b32 v5, v8, 15, v5
	v_xor_b32_e32 v7, 32, v7
	v_lshlrev_b16 v15, 8, v15
	v_and_b32_e32 v14, 0xff, v14
	v_lshlrev_b16 v13, 8, v13
	v_lshlrev_b32_e32 v5, 2, v5
	v_add_nc_u32_e32 v3, -1, v3
	v_or_b32_e32 v12, v12, v15
	s_delay_alu instid0(VALU_DEP_4) | instskip(NEXT) | instid1(VALU_DEP_3)
	v_or_b32_e32 v13, v14, v13
	v_and_b32_e32 v3, 3, v3
	s_delay_alu instid0(VALU_DEP_3) | instskip(NEXT) | instid1(VALU_DEP_3)
	v_and_b32_e32 v12, 0xffff, v12
	v_lshlrev_b32_e32 v13, 16, v13
	s_delay_alu instid0(VALU_DEP_3) | instskip(NEXT) | instid1(VALU_DEP_2)
	v_lshlrev_b32_e32 v3, 3, v3
	v_or_b32_e32 v12, v12, v13
	s_delay_alu instid0(VALU_DEP_1) | instskip(SKIP_3) | instid1(VALU_DEP_4)
	v_bfe_u32 v11, v12, v11, 8
	v_bfe_u32 v10, v12, v10, 8
	;; [unrolled: 1-line block ×3, first 2 shown]
	v_lshrrev_b32_e32 v6, v6, v12
	v_mov_b32_dpp v8, v11 quad_perm:[1,2,3,0] row_mask:0xf bank_mask:0xf
	s_delay_alu instid0(VALU_DEP_4) | instskip(NEXT) | instid1(VALU_DEP_4)
	v_mov_b32_dpp v10, v10 quad_perm:[3,0,1,2] row_mask:0xf bank_mask:0xf
	v_mov_b32_dpp v9, v9 quad_perm:[2,3,0,1] row_mask:0xf bank_mask:0xf
	s_delay_alu instid0(VALU_DEP_4) | instskip(NEXT) | instid1(VALU_DEP_4)
	v_and_b32_e32 v6, 0xff, v6
	v_and_b32_e32 v8, 0xff, v8
	s_delay_alu instid0(VALU_DEP_4) | instskip(NEXT) | instid1(VALU_DEP_4)
	v_and_b32_e32 v10, 0xff, v10
	v_and_b32_e32 v9, 0xff, v9
	ds_bpermute_b32 v8, v2, v8
	ds_bpermute_b32 v10, v5, v10
	;; [unrolled: 1-line block ×3, first 2 shown]
	s_waitcnt lgkmcnt(2)
	v_lshlrev_b16 v8, 8, v8
	s_waitcnt lgkmcnt(1)
	v_lshlrev_b16 v10, 8, v10
	s_waitcnt lgkmcnt(0)
	v_and_b32_e32 v9, 0xff, v9
	v_or_b32_e32 v6, v6, v8
	s_delay_alu instid0(VALU_DEP_2) | instskip(SKIP_2) | instid1(VALU_DEP_4)
	v_or_b32_e32 v8, v9, v10
	v_add_nc_u32_e32 v9, -1, v4
	v_lshlrev_b32_e32 v4, 3, v4
	v_and_b32_e32 v6, 0xffff, v6
	s_delay_alu instid0(VALU_DEP_4) | instskip(NEXT) | instid1(VALU_DEP_4)
	v_lshlrev_b32_e32 v8, 16, v8
	v_and_b32_e32 v9, 3, v9
	s_delay_alu instid0(VALU_DEP_2) | instskip(NEXT) | instid1(VALU_DEP_2)
	v_or_b32_e32 v6, v6, v8
	v_lshlrev_b32_e32 v8, 3, v9
	s_delay_alu instid0(VALU_DEP_2) | instskip(SKIP_1) | instid1(VALU_DEP_3)
	v_bfe_u32 v3, v6, v3, 8
	v_bfe_u32 v4, v6, v4, 8
	;; [unrolled: 1-line block ×3, first 2 shown]
	v_lshrrev_b32_e32 v19, v1, v6
	ds_bpermute_b32 v17, v5, v3
	ds_bpermute_b32 v16, v7, v4
	;; [unrolled: 1-line block ×3, first 2 shown]
.LBB46_4:
	s_delay_alu instid0(VALU_DEP_1)
	v_and_b32_e32 v1, 0xff, v19
	s_waitcnt lgkmcnt(2)
	v_lshlrev_b16 v2, 8, v17
	s_waitcnt lgkmcnt(0)
	v_lshlrev_b16 v3, 8, v18
	v_and_b32_e32 v4, 0xff, v16
	v_add_co_u32 v0, s0, s6, v0
	v_or_b32_e32 v1, v1, v2
	s_delay_alu instid0(VALU_DEP_3) | instskip(NEXT) | instid1(VALU_DEP_2)
	v_or_b32_e32 v2, v4, v3
	v_and_b32_e32 v3, 0xffff, v1
	v_add_co_ci_u32_e64 v1, null, s7, 0, s0
	s_delay_alu instid0(VALU_DEP_3) | instskip(NEXT) | instid1(VALU_DEP_1)
	v_lshlrev_b32_e32 v2, 16, v2
	v_or_b32_e32 v2, v3, v2
	global_store_b32 v[0:1], v2, off
	s_nop 0
	s_sendmsg sendmsg(MSG_DEALLOC_VGPRS)
	s_endpgm
	.section	.rodata,"a",@progbits
	.p2align	6, 0x0
	.amdhsa_kernel _Z20warp_exchange_kernelILj4ELj16EN6common25BlockedToStripedShuffleOpEaEvPT2_S3_b
		.amdhsa_group_segment_fixed_size 0
		.amdhsa_private_segment_fixed_size 0
		.amdhsa_kernarg_size 20
		.amdhsa_user_sgpr_count 15
		.amdhsa_user_sgpr_dispatch_ptr 0
		.amdhsa_user_sgpr_queue_ptr 0
		.amdhsa_user_sgpr_kernarg_segment_ptr 1
		.amdhsa_user_sgpr_dispatch_id 0
		.amdhsa_user_sgpr_private_segment_size 0
		.amdhsa_wavefront_size32 1
		.amdhsa_uses_dynamic_stack 0
		.amdhsa_enable_private_segment 0
		.amdhsa_system_sgpr_workgroup_id_x 1
		.amdhsa_system_sgpr_workgroup_id_y 0
		.amdhsa_system_sgpr_workgroup_id_z 0
		.amdhsa_system_sgpr_workgroup_info 0
		.amdhsa_system_vgpr_workitem_id 0
		.amdhsa_next_free_vgpr 23
		.amdhsa_next_free_sgpr 8
		.amdhsa_reserve_vcc 1
		.amdhsa_float_round_mode_32 0
		.amdhsa_float_round_mode_16_64 0
		.amdhsa_float_denorm_mode_32 3
		.amdhsa_float_denorm_mode_16_64 3
		.amdhsa_dx10_clamp 1
		.amdhsa_ieee_mode 1
		.amdhsa_fp16_overflow 0
		.amdhsa_workgroup_processor_mode 1
		.amdhsa_memory_ordered 1
		.amdhsa_forward_progress 0
		.amdhsa_shared_vgpr_count 0
		.amdhsa_exception_fp_ieee_invalid_op 0
		.amdhsa_exception_fp_denorm_src 0
		.amdhsa_exception_fp_ieee_div_zero 0
		.amdhsa_exception_fp_ieee_overflow 0
		.amdhsa_exception_fp_ieee_underflow 0
		.amdhsa_exception_fp_ieee_inexact 0
		.amdhsa_exception_int_div_zero 0
	.end_amdhsa_kernel
	.section	.text._Z20warp_exchange_kernelILj4ELj16EN6common25BlockedToStripedShuffleOpEaEvPT2_S3_b,"axG",@progbits,_Z20warp_exchange_kernelILj4ELj16EN6common25BlockedToStripedShuffleOpEaEvPT2_S3_b,comdat
.Lfunc_end46:
	.size	_Z20warp_exchange_kernelILj4ELj16EN6common25BlockedToStripedShuffleOpEaEvPT2_S3_b, .Lfunc_end46-_Z20warp_exchange_kernelILj4ELj16EN6common25BlockedToStripedShuffleOpEaEvPT2_S3_b
                                        ; -- End function
	.section	.AMDGPU.csdata,"",@progbits
; Kernel info:
; codeLenInByte = 1064
; NumSgprs: 10
; NumVgprs: 23
; ScratchSize: 0
; MemoryBound: 0
; FloatMode: 240
; IeeeMode: 1
; LDSByteSize: 0 bytes/workgroup (compile time only)
; SGPRBlocks: 1
; VGPRBlocks: 2
; NumSGPRsForWavesPerEU: 10
; NumVGPRsForWavesPerEU: 23
; Occupancy: 16
; WaveLimiterHint : 0
; COMPUTE_PGM_RSRC2:SCRATCH_EN: 0
; COMPUTE_PGM_RSRC2:USER_SGPR: 15
; COMPUTE_PGM_RSRC2:TRAP_HANDLER: 0
; COMPUTE_PGM_RSRC2:TGID_X_EN: 1
; COMPUTE_PGM_RSRC2:TGID_Y_EN: 0
; COMPUTE_PGM_RSRC2:TGID_Z_EN: 0
; COMPUTE_PGM_RSRC2:TIDIG_COMP_CNT: 0
	.section	.text._Z20warp_exchange_kernelILj4ELj8EN6common25BlockedToStripedShuffleOpEiEvPT2_S3_b,"axG",@progbits,_Z20warp_exchange_kernelILj4ELj8EN6common25BlockedToStripedShuffleOpEiEvPT2_S3_b,comdat
	.protected	_Z20warp_exchange_kernelILj4ELj8EN6common25BlockedToStripedShuffleOpEiEvPT2_S3_b ; -- Begin function _Z20warp_exchange_kernelILj4ELj8EN6common25BlockedToStripedShuffleOpEiEvPT2_S3_b
	.globl	_Z20warp_exchange_kernelILj4ELj8EN6common25BlockedToStripedShuffleOpEiEvPT2_S3_b
	.p2align	8
	.type	_Z20warp_exchange_kernelILj4ELj8EN6common25BlockedToStripedShuffleOpEiEvPT2_S3_b,@function
_Z20warp_exchange_kernelILj4ELj8EN6common25BlockedToStripedShuffleOpEiEvPT2_S3_b: ; @_Z20warp_exchange_kernelILj4ELj8EN6common25BlockedToStripedShuffleOpEiEvPT2_S3_b
; %bb.0:
	s_clause 0x1
	s_load_b128 s[20:23], s[0:1], 0x0
	s_load_b32 s19, s[0:1], 0x10
	v_mbcnt_lo_u32_b32 v5, -1, 0
	v_lshlrev_b32_e32 v1, 4, v0
	v_lshlrev_b32_e32 v0, 2, v0
	s_delay_alu instid0(VALU_DEP_3) | instskip(SKIP_3) | instid1(VALU_DEP_4)
	v_add_nc_u32_e32 v6, -1, v5
	v_and_b32_e32 v7, 3, v5
	v_lshlrev_b32_e32 v10, 2, v5
	v_bfe_u32 v5, v5, 2, 1
	v_dual_mov_b32 v6, 0 :: v_dual_and_b32 v11, 3, v6
	s_delay_alu instid0(VALU_DEP_4) | instskip(SKIP_2) | instid1(VALU_DEP_4)
	v_xor_b32_e32 v8, 2, v7
	v_cmp_eq_u32_e64 s12, 1, v7
	v_cmp_eq_u32_e64 s11, 2, v7
	;; [unrolled: 1-line block ×3, first 2 shown]
	v_cmp_ne_u64_e64 s2, 0, v[5:6]
	v_add_nc_u32_e32 v9, -1, v8
	s_waitcnt lgkmcnt(0)
	global_load_b128 v[1:4], v1, s[20:21]
	v_cmp_eq_u64_e64 s10, 0, v[5:6]
	v_cmp_eq_u32_e64 s16, 2, v11
	v_cmp_eq_u32_e64 s13, 3, v11
	v_and_b32_e32 v12, 3, v9
	v_xor_b32_e32 v9, 16, v10
	v_or_b32_e32 v10, 2, v5
	v_cmp_eq_u32_e64 s8, 1, v8
	v_cmp_eq_u32_e64 s7, 2, v8
	;; [unrolled: 1-line block ×12, first 2 shown]
	v_xor_b32_e32 v10, 1, v5
	v_xor_b32_e32 v11, 3, v5
	s_bitcmp0_b32 s19, 0
	s_mov_b32 s19, -1
	s_cbranch_scc0 .LBB47_2
; %bb.1:
	s_waitcnt vmcnt(0)
	v_mov_b32_dpp v5, v2 quad_perm:[3,0,1,2] row_mask:0xf bank_mask:0xf
	v_mov_b32_dpp v6, v3 quad_perm:[2,3,0,1] row_mask:0xf bank_mask:0xf
	;; [unrolled: 1-line block ×3, first 2 shown]
	v_cmp_eq_u32_e32 vcc_lo, 1, v11
	s_delay_alu instid0(VALU_DEP_4) | instskip(SKIP_1) | instid1(VALU_DEP_2)
	v_cndmask_b32_e64 v7, v1, v5, s18
	v_cndmask_b32_e64 v12, v1, v5, s17
	;; [unrolled: 1-line block ×3, first 2 shown]
	s_delay_alu instid0(VALU_DEP_2) | instskip(NEXT) | instid1(VALU_DEP_2)
	v_cndmask_b32_e64 v12, v12, v6, s15
	v_cndmask_b32_e64 v7, v7, v8, s13
	s_delay_alu instid0(VALU_DEP_2) | instskip(NEXT) | instid1(VALU_DEP_2)
	v_cndmask_b32_e64 v12, v12, v8, s14
	v_mov_b32_dpp v7, v7 quad_perm:[1,2,3,0] row_mask:0xf bank_mask:0xf
	s_delay_alu instid0(VALU_DEP_2) | instskip(SKIP_3) | instid1(VALU_DEP_2)
	v_mov_b32_dpp v12, v12 quad_perm:[3,0,1,2] row_mask:0xf bank_mask:0xf
	ds_bpermute_b32 v13, v9, v7
	v_cndmask_b32_e64 v7, v1, v5, s8
	v_cndmask_b32_e64 v5, v1, v5, s12
	;; [unrolled: 1-line block ×3, first 2 shown]
	s_delay_alu instid0(VALU_DEP_2) | instskip(SKIP_3) | instid1(VALU_DEP_2)
	v_cndmask_b32_e64 v5, v5, v6, s11
	ds_bpermute_b32 v6, v9, v12
	v_cndmask_b32_e64 v7, v7, v8, s6
	v_cndmask_b32_e64 v5, v5, v8, s9
	v_mov_b32_dpp v12, v7 quad_perm:[2,3,0,1] row_mask:0xf bank_mask:0xf
	s_waitcnt lgkmcnt(1)
	s_delay_alu instid0(VALU_DEP_2)
	v_cndmask_b32_e64 v7, v5, v13, s10
	v_cndmask_b32_e32 v8, v5, v13, vcc_lo
	v_cmp_eq_u32_e32 vcc_lo, 2, v10
	v_cndmask_b32_e64 v14, v5, v13, s2
	v_cndmask_b32_e64 v5, v5, v13, s5
	v_cndmask_b32_e32 v7, v7, v12, vcc_lo
	v_cmp_eq_u32_e32 vcc_lo, 2, v11
	s_delay_alu instid0(VALU_DEP_4)
	v_cndmask_b32_e64 v13, v14, v12, s1
	v_cndmask_b32_e32 v8, v8, v12, vcc_lo
	v_cmp_eq_u32_e32 vcc_lo, 3, v10
	v_cndmask_b32_e64 v12, v5, v12, s4
	s_waitcnt lgkmcnt(0)
	v_cndmask_b32_e64 v5, v13, v6, s0
	v_cndmask_b32_e32 v7, v7, v6, vcc_lo
	v_cmp_eq_u32_e32 vcc_lo, 3, v11
	ds_bpermute_b32 v7, v9, v7
	v_cndmask_b32_e32 v8, v8, v6, vcc_lo
	v_cndmask_b32_e64 v6, v12, v6, s3
	ds_bpermute_b32 v8, v9, v8
	s_cbranch_execz .LBB47_3
	s_branch .LBB47_4
.LBB47_2:
                                        ; implicit-def: $vgpr8
	s_and_not1_b32 vcc_lo, exec_lo, s19
	s_cbranch_vccnz .LBB47_4
.LBB47_3:
	s_waitcnt vmcnt(0)
	v_mov_b32_dpp v2, v2 quad_perm:[3,0,1,2] row_mask:0xf bank_mask:0xf
	v_mov_b32_dpp v3, v3 quad_perm:[2,3,0,1] row_mask:0xf bank_mask:0xf
	;; [unrolled: 1-line block ×3, first 2 shown]
	v_cmp_eq_u32_e32 vcc_lo, 1, v11
	s_delay_alu instid0(VALU_DEP_4)
	v_cndmask_b32_e64 v5, v1, v2, s18
	v_cndmask_b32_e64 v6, v1, v2, s17
	s_waitcnt lgkmcnt(1)
	v_cndmask_b32_e64 v7, v1, v2, s8
	v_cndmask_b32_e64 v1, v1, v2, s12
	;; [unrolled: 1-line block ×4, first 2 shown]
	s_delay_alu instid0(VALU_DEP_3) | instskip(NEXT) | instid1(VALU_DEP_3)
	v_cndmask_b32_e64 v1, v1, v3, s11
	v_cndmask_b32_e64 v5, v5, v4, s13
	s_delay_alu instid0(VALU_DEP_3) | instskip(NEXT) | instid1(VALU_DEP_3)
	v_cndmask_b32_e64 v6, v6, v4, s14
	v_cndmask_b32_e64 v1, v1, v4, s9
	s_delay_alu instid0(VALU_DEP_3) | instskip(NEXT) | instid1(VALU_DEP_3)
	v_mov_b32_dpp v5, v5 quad_perm:[1,2,3,0] row_mask:0xf bank_mask:0xf
	v_mov_b32_dpp v2, v6 quad_perm:[3,0,1,2] row_mask:0xf bank_mask:0xf
	v_cndmask_b32_e64 v6, v7, v3, s7
	ds_bpermute_b32 v5, v9, v5
	ds_bpermute_b32 v2, v9, v2
	v_cndmask_b32_e64 v3, v6, v4, s6
	s_delay_alu instid0(VALU_DEP_1) | instskip(SKIP_4) | instid1(VALU_DEP_3)
	v_mov_b32_dpp v3, v3 quad_perm:[2,3,0,1] row_mask:0xf bank_mask:0xf
	s_waitcnt lgkmcnt(1)
	v_cndmask_b32_e64 v4, v1, v5, s10
	v_cndmask_b32_e32 v6, v1, v5, vcc_lo
	v_cmp_eq_u32_e32 vcc_lo, 2, v10
	v_cndmask_b32_e32 v4, v4, v3, vcc_lo
	v_cmp_eq_u32_e32 vcc_lo, 2, v11
	s_delay_alu instid0(VALU_DEP_4)
	v_cndmask_b32_e32 v6, v6, v3, vcc_lo
	v_cmp_eq_u32_e32 vcc_lo, 3, v10
	s_waitcnt lgkmcnt(0)
	v_cndmask_b32_e32 v4, v4, v2, vcc_lo
	v_cmp_eq_u32_e32 vcc_lo, 3, v11
	ds_bpermute_b32 v7, v9, v4
	v_cndmask_b32_e32 v6, v6, v2, vcc_lo
	v_cndmask_b32_e64 v4, v1, v5, s2
	v_cndmask_b32_e64 v1, v1, v5, s5
	ds_bpermute_b32 v8, v9, v6
	v_cndmask_b32_e64 v4, v4, v3, s1
	v_cndmask_b32_e64 v1, v1, v3, s4
	s_delay_alu instid0(VALU_DEP_2) | instskip(NEXT) | instid1(VALU_DEP_2)
	v_cndmask_b32_e64 v5, v4, v2, s0
	v_cndmask_b32_e64 v6, v1, v2, s3
.LBB47_4:
	v_lshlrev_b32_e32 v0, 2, v0
	s_waitcnt lgkmcnt(0)
	global_store_b128 v0, v[5:8], s[22:23]
	s_nop 0
	s_sendmsg sendmsg(MSG_DEALLOC_VGPRS)
	s_endpgm
	.section	.rodata,"a",@progbits
	.p2align	6, 0x0
	.amdhsa_kernel _Z20warp_exchange_kernelILj4ELj8EN6common25BlockedToStripedShuffleOpEiEvPT2_S3_b
		.amdhsa_group_segment_fixed_size 0
		.amdhsa_private_segment_fixed_size 0
		.amdhsa_kernarg_size 20
		.amdhsa_user_sgpr_count 15
		.amdhsa_user_sgpr_dispatch_ptr 0
		.amdhsa_user_sgpr_queue_ptr 0
		.amdhsa_user_sgpr_kernarg_segment_ptr 1
		.amdhsa_user_sgpr_dispatch_id 0
		.amdhsa_user_sgpr_private_segment_size 0
		.amdhsa_wavefront_size32 1
		.amdhsa_uses_dynamic_stack 0
		.amdhsa_enable_private_segment 0
		.amdhsa_system_sgpr_workgroup_id_x 1
		.amdhsa_system_sgpr_workgroup_id_y 0
		.amdhsa_system_sgpr_workgroup_id_z 0
		.amdhsa_system_sgpr_workgroup_info 0
		.amdhsa_system_vgpr_workitem_id 0
		.amdhsa_next_free_vgpr 15
		.amdhsa_next_free_sgpr 24
		.amdhsa_reserve_vcc 1
		.amdhsa_float_round_mode_32 0
		.amdhsa_float_round_mode_16_64 0
		.amdhsa_float_denorm_mode_32 3
		.amdhsa_float_denorm_mode_16_64 3
		.amdhsa_dx10_clamp 1
		.amdhsa_ieee_mode 1
		.amdhsa_fp16_overflow 0
		.amdhsa_workgroup_processor_mode 1
		.amdhsa_memory_ordered 1
		.amdhsa_forward_progress 0
		.amdhsa_shared_vgpr_count 0
		.amdhsa_exception_fp_ieee_invalid_op 0
		.amdhsa_exception_fp_denorm_src 0
		.amdhsa_exception_fp_ieee_div_zero 0
		.amdhsa_exception_fp_ieee_overflow 0
		.amdhsa_exception_fp_ieee_underflow 0
		.amdhsa_exception_fp_ieee_inexact 0
		.amdhsa_exception_int_div_zero 0
	.end_amdhsa_kernel
	.section	.text._Z20warp_exchange_kernelILj4ELj8EN6common25BlockedToStripedShuffleOpEiEvPT2_S3_b,"axG",@progbits,_Z20warp_exchange_kernelILj4ELj8EN6common25BlockedToStripedShuffleOpEiEvPT2_S3_b,comdat
.Lfunc_end47:
	.size	_Z20warp_exchange_kernelILj4ELj8EN6common25BlockedToStripedShuffleOpEiEvPT2_S3_b, .Lfunc_end47-_Z20warp_exchange_kernelILj4ELj8EN6common25BlockedToStripedShuffleOpEiEvPT2_S3_b
                                        ; -- End function
	.section	.AMDGPU.csdata,"",@progbits
; Kernel info:
; codeLenInByte = 948
; NumSgprs: 26
; NumVgprs: 15
; ScratchSize: 0
; MemoryBound: 0
; FloatMode: 240
; IeeeMode: 1
; LDSByteSize: 0 bytes/workgroup (compile time only)
; SGPRBlocks: 3
; VGPRBlocks: 1
; NumSGPRsForWavesPerEU: 26
; NumVGPRsForWavesPerEU: 15
; Occupancy: 16
; WaveLimiterHint : 0
; COMPUTE_PGM_RSRC2:SCRATCH_EN: 0
; COMPUTE_PGM_RSRC2:USER_SGPR: 15
; COMPUTE_PGM_RSRC2:TRAP_HANDLER: 0
; COMPUTE_PGM_RSRC2:TGID_X_EN: 1
; COMPUTE_PGM_RSRC2:TGID_Y_EN: 0
; COMPUTE_PGM_RSRC2:TGID_Z_EN: 0
; COMPUTE_PGM_RSRC2:TIDIG_COMP_CNT: 0
	.section	.text._Z20warp_exchange_kernelILj4ELj8EN6common18BlockedToStripedOpE12hip_bfloat16EvPT2_S4_b,"axG",@progbits,_Z20warp_exchange_kernelILj4ELj8EN6common18BlockedToStripedOpE12hip_bfloat16EvPT2_S4_b,comdat
	.protected	_Z20warp_exchange_kernelILj4ELj8EN6common18BlockedToStripedOpE12hip_bfloat16EvPT2_S4_b ; -- Begin function _Z20warp_exchange_kernelILj4ELj8EN6common18BlockedToStripedOpE12hip_bfloat16EvPT2_S4_b
	.globl	_Z20warp_exchange_kernelILj4ELj8EN6common18BlockedToStripedOpE12hip_bfloat16EvPT2_S4_b
	.p2align	8
	.type	_Z20warp_exchange_kernelILj4ELj8EN6common18BlockedToStripedOpE12hip_bfloat16EvPT2_S4_b,@function
_Z20warp_exchange_kernelILj4ELj8EN6common18BlockedToStripedOpE12hip_bfloat16EvPT2_S4_b: ; @_Z20warp_exchange_kernelILj4ELj8EN6common18BlockedToStripedOpE12hip_bfloat16EvPT2_S4_b
; %bb.0:
	s_load_b128 s[4:7], s[0:1], 0x0
	v_lshlrev_b32_e32 v1, 3, v0
	s_load_b32 s0, s[0:1], 0x10
	v_mbcnt_lo_u32_b32 v3, -1, 0
	v_lshrrev_b32_e32 v5, 3, v0
	s_delay_alu instid0(VALU_DEP_2) | instskip(SKIP_1) | instid1(VALU_DEP_2)
	v_and_b32_e32 v4, 7, v3
	v_lshlrev_b32_e32 v3, 2, v0
	v_lshlrev_b32_e32 v6, 2, v4
	s_waitcnt lgkmcnt(0)
	global_load_b64 v[1:2], v1, s[4:5]
	s_bitcmp0_b32 s0, 0
	s_mov_b32 s0, -1
	s_cbranch_scc0 .LBB48_2
; %bb.1:
	v_lshl_add_u32 v0, v5, 6, 0x100
	s_delay_alu instid0(VALU_DEP_1)
	v_lshl_or_b32 v7, v6, 1, v0
	s_waitcnt vmcnt(0)
	ds_store_b64 v7, v[1:2]
	; wave barrier
	s_cbranch_execz .LBB48_3
	s_branch .LBB48_4
.LBB48_2:
                                        ; implicit-def: $vgpr0
	s_and_not1_b32 vcc_lo, exec_lo, s0
	s_cbranch_vccnz .LBB48_4
.LBB48_3:
	v_lshlrev_b32_e32 v0, 6, v5
	s_delay_alu instid0(VALU_DEP_1)
	v_lshl_or_b32 v5, v6, 1, v0
	s_waitcnt vmcnt(0)
	ds_store_b64 v5, v[1:2]
	; wave barrier
.LBB48_4:
	s_waitcnt vmcnt(0)
	v_lshl_add_u32 v2, v4, 1, v0
	ds_load_u16 v0, v2
	ds_load_u16 v1, v2 offset:32
	s_waitcnt lgkmcnt(1)
	ds_load_u16_d16_hi v0, v2 offset:16
	s_waitcnt lgkmcnt(1)
	ds_load_u16_d16_hi v1, v2 offset:48
	v_lshlrev_b32_e32 v2, 1, v3
	s_waitcnt lgkmcnt(0)
	global_store_b64 v2, v[0:1], s[6:7]
	s_nop 0
	s_sendmsg sendmsg(MSG_DEALLOC_VGPRS)
	s_endpgm
	.section	.rodata,"a",@progbits
	.p2align	6, 0x0
	.amdhsa_kernel _Z20warp_exchange_kernelILj4ELj8EN6common18BlockedToStripedOpE12hip_bfloat16EvPT2_S4_b
		.amdhsa_group_segment_fixed_size 512
		.amdhsa_private_segment_fixed_size 0
		.amdhsa_kernarg_size 20
		.amdhsa_user_sgpr_count 15
		.amdhsa_user_sgpr_dispatch_ptr 0
		.amdhsa_user_sgpr_queue_ptr 0
		.amdhsa_user_sgpr_kernarg_segment_ptr 1
		.amdhsa_user_sgpr_dispatch_id 0
		.amdhsa_user_sgpr_private_segment_size 0
		.amdhsa_wavefront_size32 1
		.amdhsa_uses_dynamic_stack 0
		.amdhsa_enable_private_segment 0
		.amdhsa_system_sgpr_workgroup_id_x 1
		.amdhsa_system_sgpr_workgroup_id_y 0
		.amdhsa_system_sgpr_workgroup_id_z 0
		.amdhsa_system_sgpr_workgroup_info 0
		.amdhsa_system_vgpr_workitem_id 0
		.amdhsa_next_free_vgpr 8
		.amdhsa_next_free_sgpr 8
		.amdhsa_reserve_vcc 1
		.amdhsa_float_round_mode_32 0
		.amdhsa_float_round_mode_16_64 0
		.amdhsa_float_denorm_mode_32 3
		.amdhsa_float_denorm_mode_16_64 3
		.amdhsa_dx10_clamp 1
		.amdhsa_ieee_mode 1
		.amdhsa_fp16_overflow 0
		.amdhsa_workgroup_processor_mode 1
		.amdhsa_memory_ordered 1
		.amdhsa_forward_progress 0
		.amdhsa_shared_vgpr_count 0
		.amdhsa_exception_fp_ieee_invalid_op 0
		.amdhsa_exception_fp_denorm_src 0
		.amdhsa_exception_fp_ieee_div_zero 0
		.amdhsa_exception_fp_ieee_overflow 0
		.amdhsa_exception_fp_ieee_underflow 0
		.amdhsa_exception_fp_ieee_inexact 0
		.amdhsa_exception_int_div_zero 0
	.end_amdhsa_kernel
	.section	.text._Z20warp_exchange_kernelILj4ELj8EN6common18BlockedToStripedOpE12hip_bfloat16EvPT2_S4_b,"axG",@progbits,_Z20warp_exchange_kernelILj4ELj8EN6common18BlockedToStripedOpE12hip_bfloat16EvPT2_S4_b,comdat
.Lfunc_end48:
	.size	_Z20warp_exchange_kernelILj4ELj8EN6common18BlockedToStripedOpE12hip_bfloat16EvPT2_S4_b, .Lfunc_end48-_Z20warp_exchange_kernelILj4ELj8EN6common18BlockedToStripedOpE12hip_bfloat16EvPT2_S4_b
                                        ; -- End function
	.section	.AMDGPU.csdata,"",@progbits
; Kernel info:
; codeLenInByte = 232
; NumSgprs: 10
; NumVgprs: 8
; ScratchSize: 0
; MemoryBound: 0
; FloatMode: 240
; IeeeMode: 1
; LDSByteSize: 512 bytes/workgroup (compile time only)
; SGPRBlocks: 1
; VGPRBlocks: 0
; NumSGPRsForWavesPerEU: 10
; NumVGPRsForWavesPerEU: 8
; Occupancy: 16
; WaveLimiterHint : 0
; COMPUTE_PGM_RSRC2:SCRATCH_EN: 0
; COMPUTE_PGM_RSRC2:USER_SGPR: 15
; COMPUTE_PGM_RSRC2:TRAP_HANDLER: 0
; COMPUTE_PGM_RSRC2:TGID_X_EN: 1
; COMPUTE_PGM_RSRC2:TGID_Y_EN: 0
; COMPUTE_PGM_RSRC2:TGID_Z_EN: 0
; COMPUTE_PGM_RSRC2:TIDIG_COMP_CNT: 0
	.section	.text._Z20warp_exchange_kernelILj5ELj32EN6common18BlockedToStripedOpEdEvPT2_S3_b,"axG",@progbits,_Z20warp_exchange_kernelILj5ELj32EN6common18BlockedToStripedOpEdEvPT2_S3_b,comdat
	.protected	_Z20warp_exchange_kernelILj5ELj32EN6common18BlockedToStripedOpEdEvPT2_S3_b ; -- Begin function _Z20warp_exchange_kernelILj5ELj32EN6common18BlockedToStripedOpEdEvPT2_S3_b
	.globl	_Z20warp_exchange_kernelILj5ELj32EN6common18BlockedToStripedOpEdEvPT2_S3_b
	.p2align	8
	.type	_Z20warp_exchange_kernelILj5ELj32EN6common18BlockedToStripedOpEdEvPT2_S3_b,@function
_Z20warp_exchange_kernelILj5ELj32EN6common18BlockedToStripedOpEdEvPT2_S3_b: ; @_Z20warp_exchange_kernelILj5ELj32EN6common18BlockedToStripedOpEdEvPT2_S3_b
; %bb.0:
	s_load_b128 s[4:7], s[0:1], 0x0
	v_mul_u32_u24_e32 v1, 5, v0
	s_load_b32 s0, s[0:1], 0x10
	v_mbcnt_lo_u32_b32 v12, -1, 0
	v_lshrrev_b32_e32 v13, 5, v0
	s_delay_alu instid0(VALU_DEP_3)
	v_lshlrev_b32_e32 v11, 3, v1
	s_waitcnt lgkmcnt(0)
	s_clause 0x2
	global_load_b64 v[9:10], v11, s[4:5] offset:32
	global_load_b128 v[1:4], v11, s[4:5] offset:16
	global_load_b128 v[5:8], v11, s[4:5]
	v_mul_u32_u24_e32 v14, 40, v12
	s_bitcmp0_b32 s0, 0
	s_mov_b32 s0, -1
	s_cbranch_scc0 .LBB49_2
; %bb.1:
	v_mad_u32_u24 v0, 0x500, v13, 0x500
	s_delay_alu instid0(VALU_DEP_1)
	v_add_nc_u32_e32 v15, v0, v14
	s_waitcnt vmcnt(0)
	ds_store_2addr_b64 v15, v[5:6], v[7:8] offset1:1
	ds_store_2addr_b64 v15, v[1:2], v[3:4] offset0:2 offset1:3
	ds_store_b64 v15, v[9:10] offset:32
	; wave barrier
	s_cbranch_execz .LBB49_3
	s_branch .LBB49_4
.LBB49_2:
                                        ; implicit-def: $vgpr0
	s_and_not1_b32 vcc_lo, exec_lo, s0
	s_cbranch_vccnz .LBB49_4
.LBB49_3:
	v_mad_u32_u24 v14, 0x500, v13, v14
	v_mul_u32_u24_e32 v0, 0x500, v13
	s_waitcnt vmcnt(0)
	ds_store_2addr_b64 v14, v[5:6], v[7:8] offset1:1
	ds_store_2addr_b64 v14, v[1:2], v[3:4] offset0:2 offset1:3
	ds_store_b64 v14, v[9:10] offset:32
	; wave barrier
.LBB49_4:
	s_waitcnt vmcnt(0)
	v_lshl_add_u32 v8, v12, 3, v0
	ds_load_2addr_b64 v[0:3], v8 offset1:32
	ds_load_2addr_b64 v[4:7], v8 offset0:64 offset1:96
	ds_load_b64 v[8:9], v8 offset:1024
	s_waitcnt lgkmcnt(2)
	global_store_b128 v11, v[0:3], s[6:7]
	s_waitcnt lgkmcnt(1)
	global_store_b128 v11, v[4:7], s[6:7] offset:16
	s_waitcnt lgkmcnt(0)
	global_store_b64 v11, v[8:9], s[6:7] offset:32
	s_nop 0
	s_sendmsg sendmsg(MSG_DEALLOC_VGPRS)
	s_endpgm
	.section	.rodata,"a",@progbits
	.p2align	6, 0x0
	.amdhsa_kernel _Z20warp_exchange_kernelILj5ELj32EN6common18BlockedToStripedOpEdEvPT2_S3_b
		.amdhsa_group_segment_fixed_size 2560
		.amdhsa_private_segment_fixed_size 0
		.amdhsa_kernarg_size 20
		.amdhsa_user_sgpr_count 15
		.amdhsa_user_sgpr_dispatch_ptr 0
		.amdhsa_user_sgpr_queue_ptr 0
		.amdhsa_user_sgpr_kernarg_segment_ptr 1
		.amdhsa_user_sgpr_dispatch_id 0
		.amdhsa_user_sgpr_private_segment_size 0
		.amdhsa_wavefront_size32 1
		.amdhsa_uses_dynamic_stack 0
		.amdhsa_enable_private_segment 0
		.amdhsa_system_sgpr_workgroup_id_x 1
		.amdhsa_system_sgpr_workgroup_id_y 0
		.amdhsa_system_sgpr_workgroup_id_z 0
		.amdhsa_system_sgpr_workgroup_info 0
		.amdhsa_system_vgpr_workitem_id 0
		.amdhsa_next_free_vgpr 16
		.amdhsa_next_free_sgpr 8
		.amdhsa_reserve_vcc 1
		.amdhsa_float_round_mode_32 0
		.amdhsa_float_round_mode_16_64 0
		.amdhsa_float_denorm_mode_32 3
		.amdhsa_float_denorm_mode_16_64 3
		.amdhsa_dx10_clamp 1
		.amdhsa_ieee_mode 1
		.amdhsa_fp16_overflow 0
		.amdhsa_workgroup_processor_mode 1
		.amdhsa_memory_ordered 1
		.amdhsa_forward_progress 0
		.amdhsa_shared_vgpr_count 0
		.amdhsa_exception_fp_ieee_invalid_op 0
		.amdhsa_exception_fp_denorm_src 0
		.amdhsa_exception_fp_ieee_div_zero 0
		.amdhsa_exception_fp_ieee_overflow 0
		.amdhsa_exception_fp_ieee_underflow 0
		.amdhsa_exception_fp_ieee_inexact 0
		.amdhsa_exception_int_div_zero 0
	.end_amdhsa_kernel
	.section	.text._Z20warp_exchange_kernelILj5ELj32EN6common18BlockedToStripedOpEdEvPT2_S3_b,"axG",@progbits,_Z20warp_exchange_kernelILj5ELj32EN6common18BlockedToStripedOpEdEvPT2_S3_b,comdat
.Lfunc_end49:
	.size	_Z20warp_exchange_kernelILj5ELj32EN6common18BlockedToStripedOpEdEvPT2_S3_b, .Lfunc_end49-_Z20warp_exchange_kernelILj5ELj32EN6common18BlockedToStripedOpEdEvPT2_S3_b
                                        ; -- End function
	.section	.AMDGPU.csdata,"",@progbits
; Kernel info:
; codeLenInByte = 284
; NumSgprs: 10
; NumVgprs: 16
; ScratchSize: 0
; MemoryBound: 1
; FloatMode: 240
; IeeeMode: 1
; LDSByteSize: 2560 bytes/workgroup (compile time only)
; SGPRBlocks: 1
; VGPRBlocks: 1
; NumSGPRsForWavesPerEU: 10
; NumVGPRsForWavesPerEU: 16
; Occupancy: 16
; WaveLimiterHint : 1
; COMPUTE_PGM_RSRC2:SCRATCH_EN: 0
; COMPUTE_PGM_RSRC2:USER_SGPR: 15
; COMPUTE_PGM_RSRC2:TRAP_HANDLER: 0
; COMPUTE_PGM_RSRC2:TGID_X_EN: 1
; COMPUTE_PGM_RSRC2:TGID_Y_EN: 0
; COMPUTE_PGM_RSRC2:TGID_Z_EN: 0
; COMPUTE_PGM_RSRC2:TIDIG_COMP_CNT: 0
	.section	.text._Z20warp_exchange_kernelILj4ELj32EN6common18BlockedToStripedOpEfEvPT2_S3_b,"axG",@progbits,_Z20warp_exchange_kernelILj4ELj32EN6common18BlockedToStripedOpEfEvPT2_S3_b,comdat
	.protected	_Z20warp_exchange_kernelILj4ELj32EN6common18BlockedToStripedOpEfEvPT2_S3_b ; -- Begin function _Z20warp_exchange_kernelILj4ELj32EN6common18BlockedToStripedOpEfEvPT2_S3_b
	.globl	_Z20warp_exchange_kernelILj4ELj32EN6common18BlockedToStripedOpEfEvPT2_S3_b
	.p2align	8
	.type	_Z20warp_exchange_kernelILj4ELj32EN6common18BlockedToStripedOpEfEvPT2_S3_b,@function
_Z20warp_exchange_kernelILj4ELj32EN6common18BlockedToStripedOpEfEvPT2_S3_b: ; @_Z20warp_exchange_kernelILj4ELj32EN6common18BlockedToStripedOpEfEvPT2_S3_b
; %bb.0:
	s_load_b128 s[4:7], s[0:1], 0x0
	v_lshlrev_b32_e32 v1, 4, v0
	s_load_b32 s0, s[0:1], 0x10
	v_mbcnt_lo_u32_b32 v6, -1, 0
	v_lshlrev_b32_e32 v5, 2, v0
	v_lshrrev_b32_e32 v7, 5, v0
	s_delay_alu instid0(VALU_DEP_3)
	v_lshlrev_b32_e32 v8, 2, v6
	s_waitcnt lgkmcnt(0)
	global_load_b128 v[1:4], v1, s[4:5]
	s_bitcmp0_b32 s0, 0
	s_mov_b32 s0, -1
	s_cbranch_scc0 .LBB50_2
; %bb.1:
	v_lshl_add_u32 v0, v7, 9, 0x200
	s_delay_alu instid0(VALU_DEP_1)
	v_lshl_or_b32 v9, v8, 2, v0
	s_waitcnt vmcnt(0)
	ds_store_b128 v9, v[1:4]
	; wave barrier
	s_cbranch_execz .LBB50_3
	s_branch .LBB50_4
.LBB50_2:
                                        ; implicit-def: $vgpr0
	s_and_not1_b32 vcc_lo, exec_lo, s0
	s_cbranch_vccnz .LBB50_4
.LBB50_3:
	v_lshlrev_b32_e32 v0, 9, v7
	s_delay_alu instid0(VALU_DEP_1)
	v_lshl_or_b32 v7, v8, 2, v0
	s_waitcnt vmcnt(0)
	ds_store_b128 v7, v[1:4]
	; wave barrier
.LBB50_4:
	s_waitcnt vmcnt(0)
	v_lshl_add_u32 v2, v6, 2, v0
	v_lshlrev_b32_e32 v4, 2, v5
	ds_load_2addr_b32 v[0:1], v2 offset1:32
	ds_load_2addr_b32 v[2:3], v2 offset0:64 offset1:96
	s_waitcnt lgkmcnt(0)
	global_store_b128 v4, v[0:3], s[6:7]
	s_nop 0
	s_sendmsg sendmsg(MSG_DEALLOC_VGPRS)
	s_endpgm
	.section	.rodata,"a",@progbits
	.p2align	6, 0x0
	.amdhsa_kernel _Z20warp_exchange_kernelILj4ELj32EN6common18BlockedToStripedOpEfEvPT2_S3_b
		.amdhsa_group_segment_fixed_size 1024
		.amdhsa_private_segment_fixed_size 0
		.amdhsa_kernarg_size 20
		.amdhsa_user_sgpr_count 15
		.amdhsa_user_sgpr_dispatch_ptr 0
		.amdhsa_user_sgpr_queue_ptr 0
		.amdhsa_user_sgpr_kernarg_segment_ptr 1
		.amdhsa_user_sgpr_dispatch_id 0
		.amdhsa_user_sgpr_private_segment_size 0
		.amdhsa_wavefront_size32 1
		.amdhsa_uses_dynamic_stack 0
		.amdhsa_enable_private_segment 0
		.amdhsa_system_sgpr_workgroup_id_x 1
		.amdhsa_system_sgpr_workgroup_id_y 0
		.amdhsa_system_sgpr_workgroup_id_z 0
		.amdhsa_system_sgpr_workgroup_info 0
		.amdhsa_system_vgpr_workitem_id 0
		.amdhsa_next_free_vgpr 10
		.amdhsa_next_free_sgpr 8
		.amdhsa_reserve_vcc 1
		.amdhsa_float_round_mode_32 0
		.amdhsa_float_round_mode_16_64 0
		.amdhsa_float_denorm_mode_32 3
		.amdhsa_float_denorm_mode_16_64 3
		.amdhsa_dx10_clamp 1
		.amdhsa_ieee_mode 1
		.amdhsa_fp16_overflow 0
		.amdhsa_workgroup_processor_mode 1
		.amdhsa_memory_ordered 1
		.amdhsa_forward_progress 0
		.amdhsa_shared_vgpr_count 0
		.amdhsa_exception_fp_ieee_invalid_op 0
		.amdhsa_exception_fp_denorm_src 0
		.amdhsa_exception_fp_ieee_div_zero 0
		.amdhsa_exception_fp_ieee_overflow 0
		.amdhsa_exception_fp_ieee_underflow 0
		.amdhsa_exception_fp_ieee_inexact 0
		.amdhsa_exception_int_div_zero 0
	.end_amdhsa_kernel
	.section	.text._Z20warp_exchange_kernelILj4ELj32EN6common18BlockedToStripedOpEfEvPT2_S3_b,"axG",@progbits,_Z20warp_exchange_kernelILj4ELj32EN6common18BlockedToStripedOpEfEvPT2_S3_b,comdat
.Lfunc_end50:
	.size	_Z20warp_exchange_kernelILj4ELj32EN6common18BlockedToStripedOpEfEvPT2_S3_b, .Lfunc_end50-_Z20warp_exchange_kernelILj4ELj32EN6common18BlockedToStripedOpEfEvPT2_S3_b
                                        ; -- End function
	.section	.AMDGPU.csdata,"",@progbits
; Kernel info:
; codeLenInByte = 204
; NumSgprs: 10
; NumVgprs: 10
; ScratchSize: 0
; MemoryBound: 0
; FloatMode: 240
; IeeeMode: 1
; LDSByteSize: 1024 bytes/workgroup (compile time only)
; SGPRBlocks: 1
; VGPRBlocks: 1
; NumSGPRsForWavesPerEU: 10
; NumVGPRsForWavesPerEU: 10
; Occupancy: 16
; WaveLimiterHint : 0
; COMPUTE_PGM_RSRC2:SCRATCH_EN: 0
; COMPUTE_PGM_RSRC2:USER_SGPR: 15
; COMPUTE_PGM_RSRC2:TRAP_HANDLER: 0
; COMPUTE_PGM_RSRC2:TGID_X_EN: 1
; COMPUTE_PGM_RSRC2:TGID_Y_EN: 0
; COMPUTE_PGM_RSRC2:TGID_Z_EN: 0
; COMPUTE_PGM_RSRC2:TIDIG_COMP_CNT: 0
	.section	.text._Z20warp_exchange_kernelILj4ELj64EN6common18BlockedToStripedOpElEvPT2_S3_b,"axG",@progbits,_Z20warp_exchange_kernelILj4ELj64EN6common18BlockedToStripedOpElEvPT2_S3_b,comdat
	.protected	_Z20warp_exchange_kernelILj4ELj64EN6common18BlockedToStripedOpElEvPT2_S3_b ; -- Begin function _Z20warp_exchange_kernelILj4ELj64EN6common18BlockedToStripedOpElEvPT2_S3_b
	.globl	_Z20warp_exchange_kernelILj4ELj64EN6common18BlockedToStripedOpElEvPT2_S3_b
	.p2align	8
	.type	_Z20warp_exchange_kernelILj4ELj64EN6common18BlockedToStripedOpElEvPT2_S3_b,@function
_Z20warp_exchange_kernelILj4ELj64EN6common18BlockedToStripedOpElEvPT2_S3_b: ; @_Z20warp_exchange_kernelILj4ELj64EN6common18BlockedToStripedOpElEvPT2_S3_b
; %bb.0:
	s_endpgm
	.section	.rodata,"a",@progbits
	.p2align	6, 0x0
	.amdhsa_kernel _Z20warp_exchange_kernelILj4ELj64EN6common18BlockedToStripedOpElEvPT2_S3_b
		.amdhsa_group_segment_fixed_size 0
		.amdhsa_private_segment_fixed_size 0
		.amdhsa_kernarg_size 20
		.amdhsa_user_sgpr_count 15
		.amdhsa_user_sgpr_dispatch_ptr 0
		.amdhsa_user_sgpr_queue_ptr 0
		.amdhsa_user_sgpr_kernarg_segment_ptr 1
		.amdhsa_user_sgpr_dispatch_id 0
		.amdhsa_user_sgpr_private_segment_size 0
		.amdhsa_wavefront_size32 1
		.amdhsa_uses_dynamic_stack 0
		.amdhsa_enable_private_segment 0
		.amdhsa_system_sgpr_workgroup_id_x 1
		.amdhsa_system_sgpr_workgroup_id_y 0
		.amdhsa_system_sgpr_workgroup_id_z 0
		.amdhsa_system_sgpr_workgroup_info 0
		.amdhsa_system_vgpr_workitem_id 0
		.amdhsa_next_free_vgpr 1
		.amdhsa_next_free_sgpr 1
		.amdhsa_reserve_vcc 0
		.amdhsa_float_round_mode_32 0
		.amdhsa_float_round_mode_16_64 0
		.amdhsa_float_denorm_mode_32 3
		.amdhsa_float_denorm_mode_16_64 3
		.amdhsa_dx10_clamp 1
		.amdhsa_ieee_mode 1
		.amdhsa_fp16_overflow 0
		.amdhsa_workgroup_processor_mode 1
		.amdhsa_memory_ordered 1
		.amdhsa_forward_progress 0
		.amdhsa_shared_vgpr_count 0
		.amdhsa_exception_fp_ieee_invalid_op 0
		.amdhsa_exception_fp_denorm_src 0
		.amdhsa_exception_fp_ieee_div_zero 0
		.amdhsa_exception_fp_ieee_overflow 0
		.amdhsa_exception_fp_ieee_underflow 0
		.amdhsa_exception_fp_ieee_inexact 0
		.amdhsa_exception_int_div_zero 0
	.end_amdhsa_kernel
	.section	.text._Z20warp_exchange_kernelILj4ELj64EN6common18BlockedToStripedOpElEvPT2_S3_b,"axG",@progbits,_Z20warp_exchange_kernelILj4ELj64EN6common18BlockedToStripedOpElEvPT2_S3_b,comdat
.Lfunc_end51:
	.size	_Z20warp_exchange_kernelILj4ELj64EN6common18BlockedToStripedOpElEvPT2_S3_b, .Lfunc_end51-_Z20warp_exchange_kernelILj4ELj64EN6common18BlockedToStripedOpElEvPT2_S3_b
                                        ; -- End function
	.section	.AMDGPU.csdata,"",@progbits
; Kernel info:
; codeLenInByte = 4
; NumSgprs: 0
; NumVgprs: 0
; ScratchSize: 0
; MemoryBound: 0
; FloatMode: 240
; IeeeMode: 1
; LDSByteSize: 0 bytes/workgroup (compile time only)
; SGPRBlocks: 0
; VGPRBlocks: 0
; NumSGPRsForWavesPerEU: 1
; NumVGPRsForWavesPerEU: 1
; Occupancy: 16
; WaveLimiterHint : 0
; COMPUTE_PGM_RSRC2:SCRATCH_EN: 0
; COMPUTE_PGM_RSRC2:USER_SGPR: 15
; COMPUTE_PGM_RSRC2:TRAP_HANDLER: 0
; COMPUTE_PGM_RSRC2:TGID_X_EN: 1
; COMPUTE_PGM_RSRC2:TGID_Y_EN: 0
; COMPUTE_PGM_RSRC2:TGID_Z_EN: 0
; COMPUTE_PGM_RSRC2:TIDIG_COMP_CNT: 0
	.section	.text._Z20warp_exchange_kernelILj2ELj32EN6common18BlockedToStripedOpEsEvPT2_S3_b,"axG",@progbits,_Z20warp_exchange_kernelILj2ELj32EN6common18BlockedToStripedOpEsEvPT2_S3_b,comdat
	.protected	_Z20warp_exchange_kernelILj2ELj32EN6common18BlockedToStripedOpEsEvPT2_S3_b ; -- Begin function _Z20warp_exchange_kernelILj2ELj32EN6common18BlockedToStripedOpEsEvPT2_S3_b
	.globl	_Z20warp_exchange_kernelILj2ELj32EN6common18BlockedToStripedOpEsEvPT2_S3_b
	.p2align	8
	.type	_Z20warp_exchange_kernelILj2ELj32EN6common18BlockedToStripedOpEsEvPT2_S3_b,@function
_Z20warp_exchange_kernelILj2ELj32EN6common18BlockedToStripedOpEsEvPT2_S3_b: ; @_Z20warp_exchange_kernelILj2ELj32EN6common18BlockedToStripedOpEsEvPT2_S3_b
; %bb.0:
	s_load_b128 s[4:7], s[0:1], 0x0
	v_lshlrev_b32_e32 v1, 2, v0
	s_load_b32 s0, s[0:1], 0x10
	v_mbcnt_lo_u32_b32 v2, -1, 0
	v_lshrrev_b32_e32 v4, 5, v0
	s_delay_alu instid0(VALU_DEP_2)
	v_lshlrev_b32_e32 v5, 1, v2
	s_waitcnt lgkmcnt(0)
	global_load_b32 v3, v1, s[4:5]
	v_lshlrev_b32_e32 v1, 1, v0
	s_bitcmp0_b32 s0, 0
	s_mov_b32 s0, -1
	s_cbranch_scc0 .LBB52_2
; %bb.1:
	v_lshl_add_u32 v0, v4, 7, 0x80
	s_delay_alu instid0(VALU_DEP_1)
	v_lshl_or_b32 v6, v5, 1, v0
	s_waitcnt vmcnt(0)
	ds_store_b32 v6, v3
	; wave barrier
	s_cbranch_execz .LBB52_3
	s_branch .LBB52_4
.LBB52_2:
                                        ; implicit-def: $vgpr0
	s_and_not1_b32 vcc_lo, exec_lo, s0
	s_cbranch_vccnz .LBB52_4
.LBB52_3:
	v_lshlrev_b32_e32 v0, 7, v4
	s_delay_alu instid0(VALU_DEP_1)
	v_lshl_or_b32 v4, v5, 1, v0
	s_waitcnt vmcnt(0)
	ds_store_b32 v4, v3
	; wave barrier
.LBB52_4:
	v_lshl_add_u32 v0, v2, 1, v0
	ds_load_u16 v2, v0
	s_waitcnt lgkmcnt(0)
	ds_load_u16_d16_hi v2, v0 offset:64
	v_lshlrev_b32_e32 v0, 1, v1
	s_waitcnt lgkmcnt(0)
	global_store_b32 v0, v2, s[6:7]
	s_nop 0
	s_sendmsg sendmsg(MSG_DEALLOC_VGPRS)
	s_endpgm
	.section	.rodata,"a",@progbits
	.p2align	6, 0x0
	.amdhsa_kernel _Z20warp_exchange_kernelILj2ELj32EN6common18BlockedToStripedOpEsEvPT2_S3_b
		.amdhsa_group_segment_fixed_size 256
		.amdhsa_private_segment_fixed_size 0
		.amdhsa_kernarg_size 20
		.amdhsa_user_sgpr_count 15
		.amdhsa_user_sgpr_dispatch_ptr 0
		.amdhsa_user_sgpr_queue_ptr 0
		.amdhsa_user_sgpr_kernarg_segment_ptr 1
		.amdhsa_user_sgpr_dispatch_id 0
		.amdhsa_user_sgpr_private_segment_size 0
		.amdhsa_wavefront_size32 1
		.amdhsa_uses_dynamic_stack 0
		.amdhsa_enable_private_segment 0
		.amdhsa_system_sgpr_workgroup_id_x 1
		.amdhsa_system_sgpr_workgroup_id_y 0
		.amdhsa_system_sgpr_workgroup_id_z 0
		.amdhsa_system_sgpr_workgroup_info 0
		.amdhsa_system_vgpr_workitem_id 0
		.amdhsa_next_free_vgpr 7
		.amdhsa_next_free_sgpr 8
		.amdhsa_reserve_vcc 1
		.amdhsa_float_round_mode_32 0
		.amdhsa_float_round_mode_16_64 0
		.amdhsa_float_denorm_mode_32 3
		.amdhsa_float_denorm_mode_16_64 3
		.amdhsa_dx10_clamp 1
		.amdhsa_ieee_mode 1
		.amdhsa_fp16_overflow 0
		.amdhsa_workgroup_processor_mode 1
		.amdhsa_memory_ordered 1
		.amdhsa_forward_progress 0
		.amdhsa_shared_vgpr_count 0
		.amdhsa_exception_fp_ieee_invalid_op 0
		.amdhsa_exception_fp_denorm_src 0
		.amdhsa_exception_fp_ieee_div_zero 0
		.amdhsa_exception_fp_ieee_overflow 0
		.amdhsa_exception_fp_ieee_underflow 0
		.amdhsa_exception_fp_ieee_inexact 0
		.amdhsa_exception_int_div_zero 0
	.end_amdhsa_kernel
	.section	.text._Z20warp_exchange_kernelILj2ELj32EN6common18BlockedToStripedOpEsEvPT2_S3_b,"axG",@progbits,_Z20warp_exchange_kernelILj2ELj32EN6common18BlockedToStripedOpEsEvPT2_S3_b,comdat
.Lfunc_end52:
	.size	_Z20warp_exchange_kernelILj2ELj32EN6common18BlockedToStripedOpEsEvPT2_S3_b, .Lfunc_end52-_Z20warp_exchange_kernelILj2ELj32EN6common18BlockedToStripedOpEsEvPT2_S3_b
                                        ; -- End function
	.section	.AMDGPU.csdata,"",@progbits
; Kernel info:
; codeLenInByte = 204
; NumSgprs: 10
; NumVgprs: 7
; ScratchSize: 0
; MemoryBound: 0
; FloatMode: 240
; IeeeMode: 1
; LDSByteSize: 256 bytes/workgroup (compile time only)
; SGPRBlocks: 1
; VGPRBlocks: 0
; NumSGPRsForWavesPerEU: 10
; NumVGPRsForWavesPerEU: 7
; Occupancy: 16
; WaveLimiterHint : 0
; COMPUTE_PGM_RSRC2:SCRATCH_EN: 0
; COMPUTE_PGM_RSRC2:USER_SGPR: 15
; COMPUTE_PGM_RSRC2:TRAP_HANDLER: 0
; COMPUTE_PGM_RSRC2:TGID_X_EN: 1
; COMPUTE_PGM_RSRC2:TGID_Y_EN: 0
; COMPUTE_PGM_RSRC2:TGID_Z_EN: 0
; COMPUTE_PGM_RSRC2:TIDIG_COMP_CNT: 0
	.section	.text._Z20warp_exchange_kernelILj4ELj16EN6common18BlockedToStripedOpEaEvPT2_S3_b,"axG",@progbits,_Z20warp_exchange_kernelILj4ELj16EN6common18BlockedToStripedOpEaEvPT2_S3_b,comdat
	.protected	_Z20warp_exchange_kernelILj4ELj16EN6common18BlockedToStripedOpEaEvPT2_S3_b ; -- Begin function _Z20warp_exchange_kernelILj4ELj16EN6common18BlockedToStripedOpEaEvPT2_S3_b
	.globl	_Z20warp_exchange_kernelILj4ELj16EN6common18BlockedToStripedOpEaEvPT2_S3_b
	.p2align	8
	.type	_Z20warp_exchange_kernelILj4ELj16EN6common18BlockedToStripedOpEaEvPT2_S3_b,@function
_Z20warp_exchange_kernelILj4ELj16EN6common18BlockedToStripedOpEaEvPT2_S3_b: ; @_Z20warp_exchange_kernelILj4ELj16EN6common18BlockedToStripedOpEaEvPT2_S3_b
; %bb.0:
	s_load_b128 s[4:7], s[0:1], 0x0
	v_lshlrev_b32_e32 v1, 2, v0
	s_load_b32 s0, s[0:1], 0x10
	v_mbcnt_lo_u32_b32 v2, -1, 0
	v_lshrrev_b32_e32 v4, 4, v0
	s_delay_alu instid0(VALU_DEP_2) | instskip(NEXT) | instid1(VALU_DEP_1)
	v_and_b32_e32 v2, 15, v2
	v_lshlrev_b32_e32 v5, 2, v2
	s_waitcnt lgkmcnt(0)
	global_load_b32 v3, v1, s[4:5]
	s_bitcmp0_b32 s0, 0
	s_mov_b32 s0, -1
	s_cbranch_scc0 .LBB53_2
; %bb.1:
	v_lshl_add_u32 v0, v4, 6, 0x80
	s_delay_alu instid0(VALU_DEP_1)
	v_or_b32_e32 v6, v0, v5
	s_waitcnt vmcnt(0)
	ds_store_b32 v6, v3
	; wave barrier
	s_cbranch_execz .LBB53_3
	s_branch .LBB53_4
.LBB53_2:
                                        ; implicit-def: $vgpr0
	s_and_not1_b32 vcc_lo, exec_lo, s0
	s_cbranch_vccnz .LBB53_4
.LBB53_3:
	v_lshlrev_b32_e32 v0, 6, v4
	s_delay_alu instid0(VALU_DEP_1)
	v_or_b32_e32 v4, v0, v5
	s_waitcnt vmcnt(0)
	ds_store_b32 v4, v3
	; wave barrier
.LBB53_4:
	v_add_nc_u32_e32 v0, v0, v2
	ds_load_u8 v2, v0 offset:16
	s_waitcnt vmcnt(0)
	ds_load_u8 v3, v0 offset:48
	ds_load_u8 v4, v0
	ds_load_u8 v0, v0 offset:32
	s_waitcnt lgkmcnt(3)
	v_lshlrev_b16 v2, 8, v2
	s_waitcnt lgkmcnt(2)
	v_lshlrev_b16 v3, 8, v3
	s_waitcnt lgkmcnt(1)
	s_delay_alu instid0(VALU_DEP_2) | instskip(SKIP_1) | instid1(VALU_DEP_2)
	v_or_b32_e32 v2, v4, v2
	s_waitcnt lgkmcnt(0)
	v_or_b32_e32 v0, v0, v3
	s_delay_alu instid0(VALU_DEP_2) | instskip(NEXT) | instid1(VALU_DEP_2)
	v_and_b32_e32 v2, 0xffff, v2
	v_lshlrev_b32_e32 v3, 16, v0
	v_add_co_u32 v0, s0, s6, v1
	s_delay_alu instid0(VALU_DEP_1) | instskip(NEXT) | instid1(VALU_DEP_3)
	v_add_co_ci_u32_e64 v1, null, s7, 0, s0
	v_or_b32_e32 v2, v2, v3
	global_store_b32 v[0:1], v2, off
	s_nop 0
	s_sendmsg sendmsg(MSG_DEALLOC_VGPRS)
	s_endpgm
	.section	.rodata,"a",@progbits
	.p2align	6, 0x0
	.amdhsa_kernel _Z20warp_exchange_kernelILj4ELj16EN6common18BlockedToStripedOpEaEvPT2_S3_b
		.amdhsa_group_segment_fixed_size 256
		.amdhsa_private_segment_fixed_size 0
		.amdhsa_kernarg_size 20
		.amdhsa_user_sgpr_count 15
		.amdhsa_user_sgpr_dispatch_ptr 0
		.amdhsa_user_sgpr_queue_ptr 0
		.amdhsa_user_sgpr_kernarg_segment_ptr 1
		.amdhsa_user_sgpr_dispatch_id 0
		.amdhsa_user_sgpr_private_segment_size 0
		.amdhsa_wavefront_size32 1
		.amdhsa_uses_dynamic_stack 0
		.amdhsa_enable_private_segment 0
		.amdhsa_system_sgpr_workgroup_id_x 1
		.amdhsa_system_sgpr_workgroup_id_y 0
		.amdhsa_system_sgpr_workgroup_id_z 0
		.amdhsa_system_sgpr_workgroup_info 0
		.amdhsa_system_vgpr_workitem_id 0
		.amdhsa_next_free_vgpr 7
		.amdhsa_next_free_sgpr 8
		.amdhsa_reserve_vcc 1
		.amdhsa_float_round_mode_32 0
		.amdhsa_float_round_mode_16_64 0
		.amdhsa_float_denorm_mode_32 3
		.amdhsa_float_denorm_mode_16_64 3
		.amdhsa_dx10_clamp 1
		.amdhsa_ieee_mode 1
		.amdhsa_fp16_overflow 0
		.amdhsa_workgroup_processor_mode 1
		.amdhsa_memory_ordered 1
		.amdhsa_forward_progress 0
		.amdhsa_shared_vgpr_count 0
		.amdhsa_exception_fp_ieee_invalid_op 0
		.amdhsa_exception_fp_denorm_src 0
		.amdhsa_exception_fp_ieee_div_zero 0
		.amdhsa_exception_fp_ieee_overflow 0
		.amdhsa_exception_fp_ieee_underflow 0
		.amdhsa_exception_fp_ieee_inexact 0
		.amdhsa_exception_int_div_zero 0
	.end_amdhsa_kernel
	.section	.text._Z20warp_exchange_kernelILj4ELj16EN6common18BlockedToStripedOpEaEvPT2_S3_b,"axG",@progbits,_Z20warp_exchange_kernelILj4ELj16EN6common18BlockedToStripedOpEaEvPT2_S3_b,comdat
.Lfunc_end53:
	.size	_Z20warp_exchange_kernelILj4ELj16EN6common18BlockedToStripedOpEaEvPT2_S3_b, .Lfunc_end53-_Z20warp_exchange_kernelILj4ELj16EN6common18BlockedToStripedOpEaEvPT2_S3_b
                                        ; -- End function
	.section	.AMDGPU.csdata,"",@progbits
; Kernel info:
; codeLenInByte = 284
; NumSgprs: 10
; NumVgprs: 7
; ScratchSize: 0
; MemoryBound: 0
; FloatMode: 240
; IeeeMode: 1
; LDSByteSize: 256 bytes/workgroup (compile time only)
; SGPRBlocks: 1
; VGPRBlocks: 0
; NumSGPRsForWavesPerEU: 10
; NumVGPRsForWavesPerEU: 7
; Occupancy: 16
; WaveLimiterHint : 0
; COMPUTE_PGM_RSRC2:SCRATCH_EN: 0
; COMPUTE_PGM_RSRC2:USER_SGPR: 15
; COMPUTE_PGM_RSRC2:TRAP_HANDLER: 0
; COMPUTE_PGM_RSRC2:TGID_X_EN: 1
; COMPUTE_PGM_RSRC2:TGID_Y_EN: 0
; COMPUTE_PGM_RSRC2:TGID_Z_EN: 0
; COMPUTE_PGM_RSRC2:TIDIG_COMP_CNT: 0
	.section	.text._Z20warp_exchange_kernelILj4ELj8EN6common18BlockedToStripedOpEiEvPT2_S3_b,"axG",@progbits,_Z20warp_exchange_kernelILj4ELj8EN6common18BlockedToStripedOpEiEvPT2_S3_b,comdat
	.protected	_Z20warp_exchange_kernelILj4ELj8EN6common18BlockedToStripedOpEiEvPT2_S3_b ; -- Begin function _Z20warp_exchange_kernelILj4ELj8EN6common18BlockedToStripedOpEiEvPT2_S3_b
	.globl	_Z20warp_exchange_kernelILj4ELj8EN6common18BlockedToStripedOpEiEvPT2_S3_b
	.p2align	8
	.type	_Z20warp_exchange_kernelILj4ELj8EN6common18BlockedToStripedOpEiEvPT2_S3_b,@function
_Z20warp_exchange_kernelILj4ELj8EN6common18BlockedToStripedOpEiEvPT2_S3_b: ; @_Z20warp_exchange_kernelILj4ELj8EN6common18BlockedToStripedOpEiEvPT2_S3_b
; %bb.0:
	s_load_b128 s[4:7], s[0:1], 0x0
	v_lshlrev_b32_e32 v1, 4, v0
	s_load_b32 s0, s[0:1], 0x10
	v_mbcnt_lo_u32_b32 v5, -1, 0
	v_lshrrev_b32_e32 v7, 3, v0
	s_delay_alu instid0(VALU_DEP_2) | instskip(SKIP_1) | instid1(VALU_DEP_2)
	v_and_b32_e32 v6, 7, v5
	v_lshlrev_b32_e32 v5, 2, v0
	v_lshlrev_b32_e32 v8, 2, v6
	s_waitcnt lgkmcnt(0)
	global_load_b128 v[1:4], v1, s[4:5]
	s_bitcmp0_b32 s0, 0
	s_mov_b32 s0, -1
	s_cbranch_scc0 .LBB54_2
; %bb.1:
	v_lshl_add_u32 v0, v7, 7, 0x200
	s_delay_alu instid0(VALU_DEP_1)
	v_lshl_or_b32 v9, v8, 2, v0
	s_waitcnt vmcnt(0)
	ds_store_b128 v9, v[1:4]
	; wave barrier
	s_cbranch_execz .LBB54_3
	s_branch .LBB54_4
.LBB54_2:
                                        ; implicit-def: $vgpr0
	s_and_not1_b32 vcc_lo, exec_lo, s0
	s_cbranch_vccnz .LBB54_4
.LBB54_3:
	v_lshlrev_b32_e32 v0, 7, v7
	s_delay_alu instid0(VALU_DEP_1)
	v_lshl_or_b32 v7, v8, 2, v0
	s_waitcnt vmcnt(0)
	ds_store_b128 v7, v[1:4]
	; wave barrier
.LBB54_4:
	s_waitcnt vmcnt(0)
	v_lshl_add_u32 v2, v6, 2, v0
	v_lshlrev_b32_e32 v4, 2, v5
	ds_load_2addr_b32 v[0:1], v2 offset1:8
	ds_load_2addr_b32 v[2:3], v2 offset0:16 offset1:24
	s_waitcnt lgkmcnt(0)
	global_store_b128 v4, v[0:3], s[6:7]
	s_nop 0
	s_sendmsg sendmsg(MSG_DEALLOC_VGPRS)
	s_endpgm
	.section	.rodata,"a",@progbits
	.p2align	6, 0x0
	.amdhsa_kernel _Z20warp_exchange_kernelILj4ELj8EN6common18BlockedToStripedOpEiEvPT2_S3_b
		.amdhsa_group_segment_fixed_size 1024
		.amdhsa_private_segment_fixed_size 0
		.amdhsa_kernarg_size 20
		.amdhsa_user_sgpr_count 15
		.amdhsa_user_sgpr_dispatch_ptr 0
		.amdhsa_user_sgpr_queue_ptr 0
		.amdhsa_user_sgpr_kernarg_segment_ptr 1
		.amdhsa_user_sgpr_dispatch_id 0
		.amdhsa_user_sgpr_private_segment_size 0
		.amdhsa_wavefront_size32 1
		.amdhsa_uses_dynamic_stack 0
		.amdhsa_enable_private_segment 0
		.amdhsa_system_sgpr_workgroup_id_x 1
		.amdhsa_system_sgpr_workgroup_id_y 0
		.amdhsa_system_sgpr_workgroup_id_z 0
		.amdhsa_system_sgpr_workgroup_info 0
		.amdhsa_system_vgpr_workitem_id 0
		.amdhsa_next_free_vgpr 10
		.amdhsa_next_free_sgpr 8
		.amdhsa_reserve_vcc 1
		.amdhsa_float_round_mode_32 0
		.amdhsa_float_round_mode_16_64 0
		.amdhsa_float_denorm_mode_32 3
		.amdhsa_float_denorm_mode_16_64 3
		.amdhsa_dx10_clamp 1
		.amdhsa_ieee_mode 1
		.amdhsa_fp16_overflow 0
		.amdhsa_workgroup_processor_mode 1
		.amdhsa_memory_ordered 1
		.amdhsa_forward_progress 0
		.amdhsa_shared_vgpr_count 0
		.amdhsa_exception_fp_ieee_invalid_op 0
		.amdhsa_exception_fp_denorm_src 0
		.amdhsa_exception_fp_ieee_div_zero 0
		.amdhsa_exception_fp_ieee_overflow 0
		.amdhsa_exception_fp_ieee_underflow 0
		.amdhsa_exception_fp_ieee_inexact 0
		.amdhsa_exception_int_div_zero 0
	.end_amdhsa_kernel
	.section	.text._Z20warp_exchange_kernelILj4ELj8EN6common18BlockedToStripedOpEiEvPT2_S3_b,"axG",@progbits,_Z20warp_exchange_kernelILj4ELj8EN6common18BlockedToStripedOpEiEvPT2_S3_b,comdat
.Lfunc_end54:
	.size	_Z20warp_exchange_kernelILj4ELj8EN6common18BlockedToStripedOpEiEvPT2_S3_b, .Lfunc_end54-_Z20warp_exchange_kernelILj4ELj8EN6common18BlockedToStripedOpEiEvPT2_S3_b
                                        ; -- End function
	.section	.AMDGPU.csdata,"",@progbits
; Kernel info:
; codeLenInByte = 208
; NumSgprs: 10
; NumVgprs: 10
; ScratchSize: 0
; MemoryBound: 0
; FloatMode: 240
; IeeeMode: 1
; LDSByteSize: 1024 bytes/workgroup (compile time only)
; SGPRBlocks: 1
; VGPRBlocks: 1
; NumSGPRsForWavesPerEU: 10
; NumVGPRsForWavesPerEU: 10
; Occupancy: 16
; WaveLimiterHint : 0
; COMPUTE_PGM_RSRC2:SCRATCH_EN: 0
; COMPUTE_PGM_RSRC2:USER_SGPR: 15
; COMPUTE_PGM_RSRC2:TRAP_HANDLER: 0
; COMPUTE_PGM_RSRC2:TGID_X_EN: 1
; COMPUTE_PGM_RSRC2:TGID_Y_EN: 0
; COMPUTE_PGM_RSRC2:TGID_Z_EN: 0
; COMPUTE_PGM_RSRC2:TIDIG_COMP_CNT: 0
	.section	.text._Z28warp_exchange_scatter_kernelILj4ELj64EitEvPT1_S1_PT2_,"axG",@progbits,_Z28warp_exchange_scatter_kernelILj4ELj64EitEvPT1_S1_PT2_,comdat
	.protected	_Z28warp_exchange_scatter_kernelILj4ELj64EitEvPT1_S1_PT2_ ; -- Begin function _Z28warp_exchange_scatter_kernelILj4ELj64EitEvPT1_S1_PT2_
	.globl	_Z28warp_exchange_scatter_kernelILj4ELj64EitEvPT1_S1_PT2_
	.p2align	8
	.type	_Z28warp_exchange_scatter_kernelILj4ELj64EitEvPT1_S1_PT2_,@function
_Z28warp_exchange_scatter_kernelILj4ELj64EitEvPT1_S1_PT2_: ; @_Z28warp_exchange_scatter_kernelILj4ELj64EitEvPT1_S1_PT2_
; %bb.0:
	s_endpgm
	.section	.rodata,"a",@progbits
	.p2align	6, 0x0
	.amdhsa_kernel _Z28warp_exchange_scatter_kernelILj4ELj64EitEvPT1_S1_PT2_
		.amdhsa_group_segment_fixed_size 0
		.amdhsa_private_segment_fixed_size 0
		.amdhsa_kernarg_size 24
		.amdhsa_user_sgpr_count 15
		.amdhsa_user_sgpr_dispatch_ptr 0
		.amdhsa_user_sgpr_queue_ptr 0
		.amdhsa_user_sgpr_kernarg_segment_ptr 1
		.amdhsa_user_sgpr_dispatch_id 0
		.amdhsa_user_sgpr_private_segment_size 0
		.amdhsa_wavefront_size32 1
		.amdhsa_uses_dynamic_stack 0
		.amdhsa_enable_private_segment 0
		.amdhsa_system_sgpr_workgroup_id_x 1
		.amdhsa_system_sgpr_workgroup_id_y 0
		.amdhsa_system_sgpr_workgroup_id_z 0
		.amdhsa_system_sgpr_workgroup_info 0
		.amdhsa_system_vgpr_workitem_id 0
		.amdhsa_next_free_vgpr 1
		.amdhsa_next_free_sgpr 1
		.amdhsa_reserve_vcc 0
		.amdhsa_float_round_mode_32 0
		.amdhsa_float_round_mode_16_64 0
		.amdhsa_float_denorm_mode_32 3
		.amdhsa_float_denorm_mode_16_64 3
		.amdhsa_dx10_clamp 1
		.amdhsa_ieee_mode 1
		.amdhsa_fp16_overflow 0
		.amdhsa_workgroup_processor_mode 1
		.amdhsa_memory_ordered 1
		.amdhsa_forward_progress 0
		.amdhsa_shared_vgpr_count 0
		.amdhsa_exception_fp_ieee_invalid_op 0
		.amdhsa_exception_fp_denorm_src 0
		.amdhsa_exception_fp_ieee_div_zero 0
		.amdhsa_exception_fp_ieee_overflow 0
		.amdhsa_exception_fp_ieee_underflow 0
		.amdhsa_exception_fp_ieee_inexact 0
		.amdhsa_exception_int_div_zero 0
	.end_amdhsa_kernel
	.section	.text._Z28warp_exchange_scatter_kernelILj4ELj64EitEvPT1_S1_PT2_,"axG",@progbits,_Z28warp_exchange_scatter_kernelILj4ELj64EitEvPT1_S1_PT2_,comdat
.Lfunc_end55:
	.size	_Z28warp_exchange_scatter_kernelILj4ELj64EitEvPT1_S1_PT2_, .Lfunc_end55-_Z28warp_exchange_scatter_kernelILj4ELj64EitEvPT1_S1_PT2_
                                        ; -- End function
	.section	.AMDGPU.csdata,"",@progbits
; Kernel info:
; codeLenInByte = 4
; NumSgprs: 0
; NumVgprs: 0
; ScratchSize: 0
; MemoryBound: 0
; FloatMode: 240
; IeeeMode: 1
; LDSByteSize: 0 bytes/workgroup (compile time only)
; SGPRBlocks: 0
; VGPRBlocks: 0
; NumSGPRsForWavesPerEU: 1
; NumVGPRsForWavesPerEU: 1
; Occupancy: 16
; WaveLimiterHint : 0
; COMPUTE_PGM_RSRC2:SCRATCH_EN: 0
; COMPUTE_PGM_RSRC2:USER_SGPR: 15
; COMPUTE_PGM_RSRC2:TRAP_HANDLER: 0
; COMPUTE_PGM_RSRC2:TGID_X_EN: 1
; COMPUTE_PGM_RSRC2:TGID_Y_EN: 0
; COMPUTE_PGM_RSRC2:TGID_Z_EN: 0
; COMPUTE_PGM_RSRC2:TIDIG_COMP_CNT: 0
	.section	.text._Z28warp_exchange_scatter_kernelILj5ELj32EitEvPT1_S1_PT2_,"axG",@progbits,_Z28warp_exchange_scatter_kernelILj5ELj32EitEvPT1_S1_PT2_,comdat
	.protected	_Z28warp_exchange_scatter_kernelILj5ELj32EitEvPT1_S1_PT2_ ; -- Begin function _Z28warp_exchange_scatter_kernelILj5ELj32EitEvPT1_S1_PT2_
	.globl	_Z28warp_exchange_scatter_kernelILj5ELj32EitEvPT1_S1_PT2_
	.p2align	8
	.type	_Z28warp_exchange_scatter_kernelILj5ELj32EitEvPT1_S1_PT2_,@function
_Z28warp_exchange_scatter_kernelILj5ELj32EitEvPT1_S1_PT2_: ; @_Z28warp_exchange_scatter_kernelILj5ELj32EitEvPT1_S1_PT2_
; %bb.0:
	s_load_b64 s[4:5], s[0:1], 0x10
	v_mul_u32_u24_e32 v1, 5, v0
	s_load_b128 s[0:3], s[0:1], 0x0
	v_lshrrev_b32_e32 v0, 5, v0
	v_mbcnt_lo_u32_b32 v10, -1, 0
	s_delay_alu instid0(VALU_DEP_3) | instskip(SKIP_1) | instid1(VALU_DEP_4)
	v_lshlrev_b32_e32 v2, 1, v1
	v_lshlrev_b32_e32 v8, 2, v1
	v_mul_u32_u24_e32 v11, 0x280, v0
	s_waitcnt lgkmcnt(0)
	s_clause 0x1
	global_load_b64 v[5:6], v2, s[4:5]
	global_load_u16 v7, v2, s[4:5] offset:8
	s_clause 0x1
	global_load_b128 v[1:4], v8, s[0:1]
	global_load_b32 v9, v8, s[0:1] offset:16
	v_lshl_or_b32 v10, v10, 2, v11
	s_waitcnt vmcnt(3)
	v_and_b32_e32 v12, 0xffff, v5
	v_lshrrev_b32_e32 v5, 14, v5
	v_and_b32_e32 v13, 0xffff, v6
	v_lshrrev_b32_e32 v6, 14, v6
	s_waitcnt vmcnt(2)
	v_lshlrev_b32_e32 v7, 2, v7
	v_lshlrev_b32_e32 v11, 2, v12
	v_and_b32_e32 v5, 0x3fffc, v5
	v_lshlrev_b32_e32 v12, 2, v13
	v_and_b32_e32 v6, 0x3fffc, v6
	s_delay_alu instid0(VALU_DEP_4) | instskip(NEXT) | instid1(VALU_DEP_4)
	v_mad_u32_u24 v11, 0x280, v0, v11
	v_mad_u32_u24 v5, 0x280, v0, v5
	s_delay_alu instid0(VALU_DEP_4) | instskip(NEXT) | instid1(VALU_DEP_4)
	v_mad_u32_u24 v12, 0x280, v0, v12
	v_mad_u32_u24 v6, 0x280, v0, v6
	;; [unrolled: 1-line block ×3, first 2 shown]
	s_waitcnt vmcnt(1)
	ds_store_b32 v11, v1
	ds_store_b32 v5, v2
	;; [unrolled: 1-line block ×4, first 2 shown]
	s_waitcnt vmcnt(0)
	ds_store_b32 v0, v9
	; wave barrier
	ds_load_2addr_b32 v[0:1], v10 offset1:32
	ds_load_2addr_b32 v[2:3], v10 offset0:64 offset1:96
	ds_load_b32 v4, v10 offset:512
	s_waitcnt lgkmcnt(1)
	global_store_b128 v8, v[0:3], s[2:3]
	s_waitcnt lgkmcnt(0)
	global_store_b32 v8, v4, s[2:3] offset:16
	s_nop 0
	s_sendmsg sendmsg(MSG_DEALLOC_VGPRS)
	s_endpgm
	.section	.rodata,"a",@progbits
	.p2align	6, 0x0
	.amdhsa_kernel _Z28warp_exchange_scatter_kernelILj5ELj32EitEvPT1_S1_PT2_
		.amdhsa_group_segment_fixed_size 640
		.amdhsa_private_segment_fixed_size 0
		.amdhsa_kernarg_size 24
		.amdhsa_user_sgpr_count 15
		.amdhsa_user_sgpr_dispatch_ptr 0
		.amdhsa_user_sgpr_queue_ptr 0
		.amdhsa_user_sgpr_kernarg_segment_ptr 1
		.amdhsa_user_sgpr_dispatch_id 0
		.amdhsa_user_sgpr_private_segment_size 0
		.amdhsa_wavefront_size32 1
		.amdhsa_uses_dynamic_stack 0
		.amdhsa_enable_private_segment 0
		.amdhsa_system_sgpr_workgroup_id_x 1
		.amdhsa_system_sgpr_workgroup_id_y 0
		.amdhsa_system_sgpr_workgroup_id_z 0
		.amdhsa_system_sgpr_workgroup_info 0
		.amdhsa_system_vgpr_workitem_id 0
		.amdhsa_next_free_vgpr 14
		.amdhsa_next_free_sgpr 6
		.amdhsa_reserve_vcc 0
		.amdhsa_float_round_mode_32 0
		.amdhsa_float_round_mode_16_64 0
		.amdhsa_float_denorm_mode_32 3
		.amdhsa_float_denorm_mode_16_64 3
		.amdhsa_dx10_clamp 1
		.amdhsa_ieee_mode 1
		.amdhsa_fp16_overflow 0
		.amdhsa_workgroup_processor_mode 1
		.amdhsa_memory_ordered 1
		.amdhsa_forward_progress 0
		.amdhsa_shared_vgpr_count 0
		.amdhsa_exception_fp_ieee_invalid_op 0
		.amdhsa_exception_fp_denorm_src 0
		.amdhsa_exception_fp_ieee_div_zero 0
		.amdhsa_exception_fp_ieee_overflow 0
		.amdhsa_exception_fp_ieee_underflow 0
		.amdhsa_exception_fp_ieee_inexact 0
		.amdhsa_exception_int_div_zero 0
	.end_amdhsa_kernel
	.section	.text._Z28warp_exchange_scatter_kernelILj5ELj32EitEvPT1_S1_PT2_,"axG",@progbits,_Z28warp_exchange_scatter_kernelILj5ELj32EitEvPT1_S1_PT2_,comdat
.Lfunc_end56:
	.size	_Z28warp_exchange_scatter_kernelILj5ELj32EitEvPT1_S1_PT2_, .Lfunc_end56-_Z28warp_exchange_scatter_kernelILj5ELj32EitEvPT1_S1_PT2_
                                        ; -- End function
	.section	.AMDGPU.csdata,"",@progbits
; Kernel info:
; codeLenInByte = 340
; NumSgprs: 6
; NumVgprs: 14
; ScratchSize: 0
; MemoryBound: 0
; FloatMode: 240
; IeeeMode: 1
; LDSByteSize: 640 bytes/workgroup (compile time only)
; SGPRBlocks: 0
; VGPRBlocks: 1
; NumSGPRsForWavesPerEU: 6
; NumVGPRsForWavesPerEU: 14
; Occupancy: 16
; WaveLimiterHint : 0
; COMPUTE_PGM_RSRC2:SCRATCH_EN: 0
; COMPUTE_PGM_RSRC2:USER_SGPR: 15
; COMPUTE_PGM_RSRC2:TRAP_HANDLER: 0
; COMPUTE_PGM_RSRC2:TGID_X_EN: 1
; COMPUTE_PGM_RSRC2:TGID_Y_EN: 0
; COMPUTE_PGM_RSRC2:TGID_Z_EN: 0
; COMPUTE_PGM_RSRC2:TIDIG_COMP_CNT: 0
	.section	.text._Z28warp_exchange_scatter_kernelILj4ELj32EltEvPT1_S1_PT2_,"axG",@progbits,_Z28warp_exchange_scatter_kernelILj4ELj32EltEvPT1_S1_PT2_,comdat
	.protected	_Z28warp_exchange_scatter_kernelILj4ELj32EltEvPT1_S1_PT2_ ; -- Begin function _Z28warp_exchange_scatter_kernelILj4ELj32EltEvPT1_S1_PT2_
	.globl	_Z28warp_exchange_scatter_kernelILj4ELj32EltEvPT1_S1_PT2_
	.p2align	8
	.type	_Z28warp_exchange_scatter_kernelILj4ELj32EltEvPT1_S1_PT2_,@function
_Z28warp_exchange_scatter_kernelILj4ELj32EltEvPT1_S1_PT2_: ; @_Z28warp_exchange_scatter_kernelILj4ELj32EltEvPT1_S1_PT2_
; %bb.0:
	s_clause 0x1
	s_load_b64 s[4:5], s[0:1], 0x10
	s_load_b128 s[0:3], s[0:1], 0x0
	v_lshlrev_b32_e32 v1, 3, v0
	v_lshlrev_b32_e32 v10, 5, v0
	v_mbcnt_lo_u32_b32 v14, -1, 0
	s_delay_alu instid0(VALU_DEP_2)
	v_and_b32_e32 v13, 0x7c00, v10
	s_waitcnt lgkmcnt(0)
	global_load_b64 v[8:9], v1, s[4:5]
	s_clause 0x1
	global_load_b128 v[0:3], v10, s[0:1]
	global_load_b128 v[4:7], v10, s[0:1] offset:16
	s_waitcnt vmcnt(2)
	v_lshrrev_b32_e32 v11, 13, v8
	v_lshrrev_b32_e32 v12, 13, v9
	v_and_b32_e32 v8, 0xffff, v8
	v_and_b32_e32 v9, 0xffff, v9
	s_delay_alu instid0(VALU_DEP_4) | instskip(NEXT) | instid1(VALU_DEP_4)
	v_and_b32_e32 v11, 0x7fff8, v11
	v_and_b32_e32 v12, 0x7fff8, v12
	s_delay_alu instid0(VALU_DEP_4) | instskip(NEXT) | instid1(VALU_DEP_4)
	v_lshl_add_u32 v8, v8, 3, v13
	v_lshl_add_u32 v9, v9, 3, v13
	s_delay_alu instid0(VALU_DEP_4) | instskip(NEXT) | instid1(VALU_DEP_4)
	v_add_nc_u32_e32 v11, v13, v11
	v_add_nc_u32_e32 v12, v13, v12
	v_lshl_or_b32 v13, v14, 3, v13
	s_waitcnt vmcnt(1)
	ds_store_b64 v8, v[0:1]
	ds_store_b64 v11, v[2:3]
	s_waitcnt vmcnt(0)
	ds_store_b64 v9, v[4:5]
	ds_store_b64 v12, v[6:7]
	; wave barrier
	ds_load_2addr_b64 v[0:3], v13 offset1:32
	ds_load_2addr_b64 v[4:7], v13 offset0:64 offset1:96
	s_waitcnt lgkmcnt(1)
	global_store_b128 v10, v[0:3], s[2:3]
	s_waitcnt lgkmcnt(0)
	global_store_b128 v10, v[4:7], s[2:3] offset:16
	s_nop 0
	s_sendmsg sendmsg(MSG_DEALLOC_VGPRS)
	s_endpgm
	.section	.rodata,"a",@progbits
	.p2align	6, 0x0
	.amdhsa_kernel _Z28warp_exchange_scatter_kernelILj4ELj32EltEvPT1_S1_PT2_
		.amdhsa_group_segment_fixed_size 1024
		.amdhsa_private_segment_fixed_size 0
		.amdhsa_kernarg_size 24
		.amdhsa_user_sgpr_count 15
		.amdhsa_user_sgpr_dispatch_ptr 0
		.amdhsa_user_sgpr_queue_ptr 0
		.amdhsa_user_sgpr_kernarg_segment_ptr 1
		.amdhsa_user_sgpr_dispatch_id 0
		.amdhsa_user_sgpr_private_segment_size 0
		.amdhsa_wavefront_size32 1
		.amdhsa_uses_dynamic_stack 0
		.amdhsa_enable_private_segment 0
		.amdhsa_system_sgpr_workgroup_id_x 1
		.amdhsa_system_sgpr_workgroup_id_y 0
		.amdhsa_system_sgpr_workgroup_id_z 0
		.amdhsa_system_sgpr_workgroup_info 0
		.amdhsa_system_vgpr_workitem_id 0
		.amdhsa_next_free_vgpr 15
		.amdhsa_next_free_sgpr 6
		.amdhsa_reserve_vcc 0
		.amdhsa_float_round_mode_32 0
		.amdhsa_float_round_mode_16_64 0
		.amdhsa_float_denorm_mode_32 3
		.amdhsa_float_denorm_mode_16_64 3
		.amdhsa_dx10_clamp 1
		.amdhsa_ieee_mode 1
		.amdhsa_fp16_overflow 0
		.amdhsa_workgroup_processor_mode 1
		.amdhsa_memory_ordered 1
		.amdhsa_forward_progress 0
		.amdhsa_shared_vgpr_count 0
		.amdhsa_exception_fp_ieee_invalid_op 0
		.amdhsa_exception_fp_denorm_src 0
		.amdhsa_exception_fp_ieee_div_zero 0
		.amdhsa_exception_fp_ieee_overflow 0
		.amdhsa_exception_fp_ieee_underflow 0
		.amdhsa_exception_fp_ieee_inexact 0
		.amdhsa_exception_int_div_zero 0
	.end_amdhsa_kernel
	.section	.text._Z28warp_exchange_scatter_kernelILj4ELj32EltEvPT1_S1_PT2_,"axG",@progbits,_Z28warp_exchange_scatter_kernelILj4ELj32EltEvPT1_S1_PT2_,comdat
.Lfunc_end57:
	.size	_Z28warp_exchange_scatter_kernelILj4ELj32EltEvPT1_S1_PT2_, .Lfunc_end57-_Z28warp_exchange_scatter_kernelILj4ELj32EltEvPT1_S1_PT2_
                                        ; -- End function
	.section	.AMDGPU.csdata,"",@progbits
; Kernel info:
; codeLenInByte = 260
; NumSgprs: 6
; NumVgprs: 15
; ScratchSize: 0
; MemoryBound: 1
; FloatMode: 240
; IeeeMode: 1
; LDSByteSize: 1024 bytes/workgroup (compile time only)
; SGPRBlocks: 0
; VGPRBlocks: 1
; NumSGPRsForWavesPerEU: 6
; NumVGPRsForWavesPerEU: 15
; Occupancy: 16
; WaveLimiterHint : 1
; COMPUTE_PGM_RSRC2:SCRATCH_EN: 0
; COMPUTE_PGM_RSRC2:USER_SGPR: 15
; COMPUTE_PGM_RSRC2:TRAP_HANDLER: 0
; COMPUTE_PGM_RSRC2:TGID_X_EN: 1
; COMPUTE_PGM_RSRC2:TGID_Y_EN: 0
; COMPUTE_PGM_RSRC2:TGID_Z_EN: 0
; COMPUTE_PGM_RSRC2:TIDIG_COMP_CNT: 0
	.section	.text._Z28warp_exchange_scatter_kernelILj2ELj32EitEvPT1_S1_PT2_,"axG",@progbits,_Z28warp_exchange_scatter_kernelILj2ELj32EitEvPT1_S1_PT2_,comdat
	.protected	_Z28warp_exchange_scatter_kernelILj2ELj32EitEvPT1_S1_PT2_ ; -- Begin function _Z28warp_exchange_scatter_kernelILj2ELj32EitEvPT1_S1_PT2_
	.globl	_Z28warp_exchange_scatter_kernelILj2ELj32EitEvPT1_S1_PT2_
	.p2align	8
	.type	_Z28warp_exchange_scatter_kernelILj2ELj32EitEvPT1_S1_PT2_,@function
_Z28warp_exchange_scatter_kernelILj2ELj32EitEvPT1_S1_PT2_: ; @_Z28warp_exchange_scatter_kernelILj2ELj32EitEvPT1_S1_PT2_
; %bb.0:
	s_clause 0x1
	s_load_b64 s[4:5], s[0:1], 0x10
	s_load_b128 s[0:3], s[0:1], 0x0
	v_lshlrev_b32_e32 v1, 2, v0
	v_lshlrev_b32_e32 v3, 3, v0
	v_mbcnt_lo_u32_b32 v6, -1, 0
	s_delay_alu instid0(VALU_DEP_2)
	v_and_b32_e32 v5, 0x1f00, v3
	s_waitcnt lgkmcnt(0)
	global_load_b32 v2, v1, s[4:5]
	global_load_b64 v[0:1], v3, s[0:1]
	s_waitcnt vmcnt(1)
	v_lshrrev_b32_e32 v4, 14, v2
	v_and_b32_e32 v2, 0xffff, v2
	s_delay_alu instid0(VALU_DEP_2) | instskip(NEXT) | instid1(VALU_DEP_2)
	v_and_b32_e32 v4, 0x3fffc, v4
	v_lshl_add_u32 v2, v2, 2, v5
	s_delay_alu instid0(VALU_DEP_2)
	v_add_nc_u32_e32 v4, v5, v4
	v_lshl_or_b32 v5, v6, 2, v5
	s_waitcnt vmcnt(0)
	ds_store_b32 v2, v0
	ds_store_b32 v4, v1
	; wave barrier
	ds_load_2addr_b32 v[0:1], v5 offset1:32
	s_waitcnt lgkmcnt(0)
	global_store_b64 v3, v[0:1], s[2:3]
	s_nop 0
	s_sendmsg sendmsg(MSG_DEALLOC_VGPRS)
	s_endpgm
	.section	.rodata,"a",@progbits
	.p2align	6, 0x0
	.amdhsa_kernel _Z28warp_exchange_scatter_kernelILj2ELj32EitEvPT1_S1_PT2_
		.amdhsa_group_segment_fixed_size 256
		.amdhsa_private_segment_fixed_size 0
		.amdhsa_kernarg_size 24
		.amdhsa_user_sgpr_count 15
		.amdhsa_user_sgpr_dispatch_ptr 0
		.amdhsa_user_sgpr_queue_ptr 0
		.amdhsa_user_sgpr_kernarg_segment_ptr 1
		.amdhsa_user_sgpr_dispatch_id 0
		.amdhsa_user_sgpr_private_segment_size 0
		.amdhsa_wavefront_size32 1
		.amdhsa_uses_dynamic_stack 0
		.amdhsa_enable_private_segment 0
		.amdhsa_system_sgpr_workgroup_id_x 1
		.amdhsa_system_sgpr_workgroup_id_y 0
		.amdhsa_system_sgpr_workgroup_id_z 0
		.amdhsa_system_sgpr_workgroup_info 0
		.amdhsa_system_vgpr_workitem_id 0
		.amdhsa_next_free_vgpr 7
		.amdhsa_next_free_sgpr 6
		.amdhsa_reserve_vcc 0
		.amdhsa_float_round_mode_32 0
		.amdhsa_float_round_mode_16_64 0
		.amdhsa_float_denorm_mode_32 3
		.amdhsa_float_denorm_mode_16_64 3
		.amdhsa_dx10_clamp 1
		.amdhsa_ieee_mode 1
		.amdhsa_fp16_overflow 0
		.amdhsa_workgroup_processor_mode 1
		.amdhsa_memory_ordered 1
		.amdhsa_forward_progress 0
		.amdhsa_shared_vgpr_count 0
		.amdhsa_exception_fp_ieee_invalid_op 0
		.amdhsa_exception_fp_denorm_src 0
		.amdhsa_exception_fp_ieee_div_zero 0
		.amdhsa_exception_fp_ieee_overflow 0
		.amdhsa_exception_fp_ieee_underflow 0
		.amdhsa_exception_fp_ieee_inexact 0
		.amdhsa_exception_int_div_zero 0
	.end_amdhsa_kernel
	.section	.text._Z28warp_exchange_scatter_kernelILj2ELj32EitEvPT1_S1_PT2_,"axG",@progbits,_Z28warp_exchange_scatter_kernelILj2ELj32EitEvPT1_S1_PT2_,comdat
.Lfunc_end58:
	.size	_Z28warp_exchange_scatter_kernelILj2ELj32EitEvPT1_S1_PT2_, .Lfunc_end58-_Z28warp_exchange_scatter_kernelILj2ELj32EitEvPT1_S1_PT2_
                                        ; -- End function
	.section	.AMDGPU.csdata,"",@progbits
; Kernel info:
; codeLenInByte = 172
; NumSgprs: 6
; NumVgprs: 7
; ScratchSize: 0
; MemoryBound: 0
; FloatMode: 240
; IeeeMode: 1
; LDSByteSize: 256 bytes/workgroup (compile time only)
; SGPRBlocks: 0
; VGPRBlocks: 0
; NumSGPRsForWavesPerEU: 6
; NumVGPRsForWavesPerEU: 7
; Occupancy: 16
; WaveLimiterHint : 0
; COMPUTE_PGM_RSRC2:SCRATCH_EN: 0
; COMPUTE_PGM_RSRC2:USER_SGPR: 15
; COMPUTE_PGM_RSRC2:TRAP_HANDLER: 0
; COMPUTE_PGM_RSRC2:TGID_X_EN: 1
; COMPUTE_PGM_RSRC2:TGID_Y_EN: 0
; COMPUTE_PGM_RSRC2:TGID_Z_EN: 0
; COMPUTE_PGM_RSRC2:TIDIG_COMP_CNT: 0
	.section	.text._Z28warp_exchange_scatter_kernelILj4ELj16EstEvPT1_S1_PT2_,"axG",@progbits,_Z28warp_exchange_scatter_kernelILj4ELj16EstEvPT1_S1_PT2_,comdat
	.protected	_Z28warp_exchange_scatter_kernelILj4ELj16EstEvPT1_S1_PT2_ ; -- Begin function _Z28warp_exchange_scatter_kernelILj4ELj16EstEvPT1_S1_PT2_
	.globl	_Z28warp_exchange_scatter_kernelILj4ELj16EstEvPT1_S1_PT2_
	.p2align	8
	.type	_Z28warp_exchange_scatter_kernelILj4ELj16EstEvPT1_S1_PT2_,@function
_Z28warp_exchange_scatter_kernelILj4ELj16EstEvPT1_S1_PT2_: ; @_Z28warp_exchange_scatter_kernelILj4ELj16EstEvPT1_S1_PT2_
; %bb.0:
	s_clause 0x1
	s_load_b64 s[4:5], s[0:1], 0x10
	s_load_b128 s[0:3], s[0:1], 0x0
	v_lshlrev_b32_e32 v4, 3, v0
	v_mbcnt_lo_u32_b32 v6, -1, 0
	s_waitcnt lgkmcnt(0)
	s_clause 0x1
	global_load_b64 v[0:1], v4, s[4:5]
	global_load_b64 v[2:3], v4, s[0:1]
	v_and_b32_e32 v8, 0x1f80, v4
	v_and_b32_e32 v6, 15, v6
	s_delay_alu instid0(VALU_DEP_1)
	v_lshl_or_b32 v6, v6, 1, v8
	s_waitcnt vmcnt(1)
	v_lshrrev_b32_e32 v5, 15, v0
	v_lshrrev_b32_e32 v7, 15, v1
	v_and_b32_e32 v0, 0xffff, v0
	v_and_b32_e32 v1, 0xffff, v1
	s_delay_alu instid0(VALU_DEP_4) | instskip(NEXT) | instid1(VALU_DEP_4)
	v_and_b32_e32 v5, 0x1fffe, v5
	v_and_b32_e32 v7, 0x1fffe, v7
	s_delay_alu instid0(VALU_DEP_4) | instskip(NEXT) | instid1(VALU_DEP_4)
	v_lshl_add_u32 v0, v0, 1, v8
	v_lshl_add_u32 v1, v1, 1, v8
	s_delay_alu instid0(VALU_DEP_4) | instskip(NEXT) | instid1(VALU_DEP_4)
	v_add_nc_u32_e32 v5, v8, v5
	v_add_nc_u32_e32 v7, v8, v7
	s_waitcnt vmcnt(0)
	ds_store_b16 v0, v2
	ds_store_b16_d16_hi v5, v2
	ds_store_b16 v1, v3
	ds_store_b16_d16_hi v7, v3
	; wave barrier
	ds_load_u16 v0, v6
	ds_load_u16 v1, v6 offset:64
	s_waitcnt lgkmcnt(1)
	ds_load_u16_d16_hi v0, v6 offset:32
	s_waitcnt lgkmcnt(1)
	ds_load_u16_d16_hi v1, v6 offset:96
	s_waitcnt lgkmcnt(0)
	global_store_b64 v4, v[0:1], s[2:3]
	s_nop 0
	s_sendmsg sendmsg(MSG_DEALLOC_VGPRS)
	s_endpgm
	.section	.rodata,"a",@progbits
	.p2align	6, 0x0
	.amdhsa_kernel _Z28warp_exchange_scatter_kernelILj4ELj16EstEvPT1_S1_PT2_
		.amdhsa_group_segment_fixed_size 256
		.amdhsa_private_segment_fixed_size 0
		.amdhsa_kernarg_size 24
		.amdhsa_user_sgpr_count 15
		.amdhsa_user_sgpr_dispatch_ptr 0
		.amdhsa_user_sgpr_queue_ptr 0
		.amdhsa_user_sgpr_kernarg_segment_ptr 1
		.amdhsa_user_sgpr_dispatch_id 0
		.amdhsa_user_sgpr_private_segment_size 0
		.amdhsa_wavefront_size32 1
		.amdhsa_uses_dynamic_stack 0
		.amdhsa_enable_private_segment 0
		.amdhsa_system_sgpr_workgroup_id_x 1
		.amdhsa_system_sgpr_workgroup_id_y 0
		.amdhsa_system_sgpr_workgroup_id_z 0
		.amdhsa_system_sgpr_workgroup_info 0
		.amdhsa_system_vgpr_workitem_id 0
		.amdhsa_next_free_vgpr 9
		.amdhsa_next_free_sgpr 6
		.amdhsa_reserve_vcc 0
		.amdhsa_float_round_mode_32 0
		.amdhsa_float_round_mode_16_64 0
		.amdhsa_float_denorm_mode_32 3
		.amdhsa_float_denorm_mode_16_64 3
		.amdhsa_dx10_clamp 1
		.amdhsa_ieee_mode 1
		.amdhsa_fp16_overflow 0
		.amdhsa_workgroup_processor_mode 1
		.amdhsa_memory_ordered 1
		.amdhsa_forward_progress 0
		.amdhsa_shared_vgpr_count 0
		.amdhsa_exception_fp_ieee_invalid_op 0
		.amdhsa_exception_fp_denorm_src 0
		.amdhsa_exception_fp_ieee_div_zero 0
		.amdhsa_exception_fp_ieee_overflow 0
		.amdhsa_exception_fp_ieee_underflow 0
		.amdhsa_exception_fp_ieee_inexact 0
		.amdhsa_exception_int_div_zero 0
	.end_amdhsa_kernel
	.section	.text._Z28warp_exchange_scatter_kernelILj4ELj16EstEvPT1_S1_PT2_,"axG",@progbits,_Z28warp_exchange_scatter_kernelILj4ELj16EstEvPT1_S1_PT2_,comdat
.Lfunc_end59:
	.size	_Z28warp_exchange_scatter_kernelILj4ELj16EstEvPT1_S1_PT2_, .Lfunc_end59-_Z28warp_exchange_scatter_kernelILj4ELj16EstEvPT1_S1_PT2_
                                        ; -- End function
	.section	.AMDGPU.csdata,"",@progbits
; Kernel info:
; codeLenInByte = 260
; NumSgprs: 6
; NumVgprs: 9
; ScratchSize: 0
; MemoryBound: 0
; FloatMode: 240
; IeeeMode: 1
; LDSByteSize: 256 bytes/workgroup (compile time only)
; SGPRBlocks: 0
; VGPRBlocks: 1
; NumSGPRsForWavesPerEU: 6
; NumVGPRsForWavesPerEU: 9
; Occupancy: 16
; WaveLimiterHint : 0
; COMPUTE_PGM_RSRC2:SCRATCH_EN: 0
; COMPUTE_PGM_RSRC2:USER_SGPR: 15
; COMPUTE_PGM_RSRC2:TRAP_HANDLER: 0
; COMPUTE_PGM_RSRC2:TGID_X_EN: 1
; COMPUTE_PGM_RSRC2:TGID_Y_EN: 0
; COMPUTE_PGM_RSRC2:TGID_Z_EN: 0
; COMPUTE_PGM_RSRC2:TIDIG_COMP_CNT: 0
	.section	.text._Z28warp_exchange_scatter_kernelILj4ELj8EitEvPT1_S1_PT2_,"axG",@progbits,_Z28warp_exchange_scatter_kernelILj4ELj8EitEvPT1_S1_PT2_,comdat
	.protected	_Z28warp_exchange_scatter_kernelILj4ELj8EitEvPT1_S1_PT2_ ; -- Begin function _Z28warp_exchange_scatter_kernelILj4ELj8EitEvPT1_S1_PT2_
	.globl	_Z28warp_exchange_scatter_kernelILj4ELj8EitEvPT1_S1_PT2_
	.p2align	8
	.type	_Z28warp_exchange_scatter_kernelILj4ELj8EitEvPT1_S1_PT2_,@function
_Z28warp_exchange_scatter_kernelILj4ELj8EitEvPT1_S1_PT2_: ; @_Z28warp_exchange_scatter_kernelILj4ELj8EitEvPT1_S1_PT2_
; %bb.0:
	s_clause 0x1
	s_load_b64 s[4:5], s[0:1], 0x10
	s_load_b128 s[0:3], s[0:1], 0x0
	v_lshlrev_b32_e32 v1, 3, v0
	v_lshlrev_b32_e32 v6, 4, v0
	v_mbcnt_lo_u32_b32 v8, -1, 0
	s_delay_alu instid0(VALU_DEP_2) | instskip(NEXT) | instid1(VALU_DEP_2)
	v_and_b32_e32 v10, 0x3f80, v6
	v_and_b32_e32 v8, 7, v8
	s_delay_alu instid0(VALU_DEP_1)
	v_lshl_or_b32 v8, v8, 2, v10
	s_waitcnt lgkmcnt(0)
	global_load_b64 v[4:5], v1, s[4:5]
	global_load_b128 v[0:3], v6, s[0:1]
	s_waitcnt vmcnt(1)
	v_lshrrev_b32_e32 v7, 14, v4
	v_lshrrev_b32_e32 v9, 14, v5
	v_and_b32_e32 v4, 0xffff, v4
	v_and_b32_e32 v5, 0xffff, v5
	s_delay_alu instid0(VALU_DEP_4) | instskip(NEXT) | instid1(VALU_DEP_4)
	v_and_b32_e32 v7, 0x3fffc, v7
	v_and_b32_e32 v9, 0x3fffc, v9
	s_delay_alu instid0(VALU_DEP_4) | instskip(NEXT) | instid1(VALU_DEP_4)
	v_lshl_add_u32 v4, v4, 2, v10
	v_lshl_add_u32 v5, v5, 2, v10
	s_delay_alu instid0(VALU_DEP_4) | instskip(NEXT) | instid1(VALU_DEP_4)
	v_add_nc_u32_e32 v7, v10, v7
	v_add_nc_u32_e32 v9, v10, v9
	s_waitcnt vmcnt(0)
	ds_store_b32 v4, v0
	ds_store_b32 v7, v1
	;; [unrolled: 1-line block ×4, first 2 shown]
	; wave barrier
	ds_load_2addr_b32 v[0:1], v8 offset1:8
	ds_load_2addr_b32 v[2:3], v8 offset0:16 offset1:24
	s_waitcnt lgkmcnt(0)
	global_store_b128 v6, v[0:3], s[2:3]
	s_nop 0
	s_sendmsg sendmsg(MSG_DEALLOC_VGPRS)
	s_endpgm
	.section	.rodata,"a",@progbits
	.p2align	6, 0x0
	.amdhsa_kernel _Z28warp_exchange_scatter_kernelILj4ELj8EitEvPT1_S1_PT2_
		.amdhsa_group_segment_fixed_size 512
		.amdhsa_private_segment_fixed_size 0
		.amdhsa_kernarg_size 24
		.amdhsa_user_sgpr_count 15
		.amdhsa_user_sgpr_dispatch_ptr 0
		.amdhsa_user_sgpr_queue_ptr 0
		.amdhsa_user_sgpr_kernarg_segment_ptr 1
		.amdhsa_user_sgpr_dispatch_id 0
		.amdhsa_user_sgpr_private_segment_size 0
		.amdhsa_wavefront_size32 1
		.amdhsa_uses_dynamic_stack 0
		.amdhsa_enable_private_segment 0
		.amdhsa_system_sgpr_workgroup_id_x 1
		.amdhsa_system_sgpr_workgroup_id_y 0
		.amdhsa_system_sgpr_workgroup_id_z 0
		.amdhsa_system_sgpr_workgroup_info 0
		.amdhsa_system_vgpr_workitem_id 0
		.amdhsa_next_free_vgpr 11
		.amdhsa_next_free_sgpr 6
		.amdhsa_reserve_vcc 0
		.amdhsa_float_round_mode_32 0
		.amdhsa_float_round_mode_16_64 0
		.amdhsa_float_denorm_mode_32 3
		.amdhsa_float_denorm_mode_16_64 3
		.amdhsa_dx10_clamp 1
		.amdhsa_ieee_mode 1
		.amdhsa_fp16_overflow 0
		.amdhsa_workgroup_processor_mode 1
		.amdhsa_memory_ordered 1
		.amdhsa_forward_progress 0
		.amdhsa_shared_vgpr_count 0
		.amdhsa_exception_fp_ieee_invalid_op 0
		.amdhsa_exception_fp_denorm_src 0
		.amdhsa_exception_fp_ieee_div_zero 0
		.amdhsa_exception_fp_ieee_overflow 0
		.amdhsa_exception_fp_ieee_underflow 0
		.amdhsa_exception_fp_ieee_inexact 0
		.amdhsa_exception_int_div_zero 0
	.end_amdhsa_kernel
	.section	.text._Z28warp_exchange_scatter_kernelILj4ELj8EitEvPT1_S1_PT2_,"axG",@progbits,_Z28warp_exchange_scatter_kernelILj4ELj8EitEvPT1_S1_PT2_,comdat
.Lfunc_end60:
	.size	_Z28warp_exchange_scatter_kernelILj4ELj8EitEvPT1_S1_PT2_, .Lfunc_end60-_Z28warp_exchange_scatter_kernelILj4ELj8EitEvPT1_S1_PT2_
                                        ; -- End function
	.section	.AMDGPU.csdata,"",@progbits
; Kernel info:
; codeLenInByte = 240
; NumSgprs: 6
; NumVgprs: 11
; ScratchSize: 0
; MemoryBound: 0
; FloatMode: 240
; IeeeMode: 1
; LDSByteSize: 512 bytes/workgroup (compile time only)
; SGPRBlocks: 0
; VGPRBlocks: 1
; NumSGPRsForWavesPerEU: 6
; NumVGPRsForWavesPerEU: 11
; Occupancy: 16
; WaveLimiterHint : 0
; COMPUTE_PGM_RSRC2:SCRATCH_EN: 0
; COMPUTE_PGM_RSRC2:USER_SGPR: 15
; COMPUTE_PGM_RSRC2:TRAP_HANDLER: 0
; COMPUTE_PGM_RSRC2:TGID_X_EN: 1
; COMPUTE_PGM_RSRC2:TGID_Y_EN: 0
; COMPUTE_PGM_RSRC2:TGID_Z_EN: 0
; COMPUTE_PGM_RSRC2:TIDIG_COMP_CNT: 0
	.text
	.p2alignl 7, 3214868480
	.fill 96, 4, 3214868480
	.type	__hip_cuid_bb1bdccbae55d7c5,@object ; @__hip_cuid_bb1bdccbae55d7c5
	.section	.bss,"aw",@nobits
	.globl	__hip_cuid_bb1bdccbae55d7c5
__hip_cuid_bb1bdccbae55d7c5:
	.byte	0                               ; 0x0
	.size	__hip_cuid_bb1bdccbae55d7c5, 1

	.ident	"AMD clang version 19.0.0git (https://github.com/RadeonOpenCompute/llvm-project roc-6.4.0 25133 c7fe45cf4b819c5991fe208aaa96edf142730f1d)"
	.section	".note.GNU-stack","",@progbits
	.addrsig
	.addrsig_sym __hip_cuid_bb1bdccbae55d7c5
	.amdgpu_metadata
---
amdhsa.kernels:
  - .args:
      - .address_space:  global
        .offset:         0
        .size:           8
        .value_kind:     global_buffer
      - .address_space:  global
        .offset:         8
        .size:           8
        .value_kind:     global_buffer
      - .offset:         16
        .size:           1
        .value_kind:     by_value
    .group_segment_fixed_size: 0
    .kernarg_segment_align: 8
    .kernarg_segment_size: 20
    .language:       OpenCL C
    .language_version:
      - 2
      - 0
    .max_flat_workgroup_size: 1024
    .name:           _Z20warp_exchange_kernelILj64ELj16EN6common25StripedToBlockedShuffleOpE12hip_bfloat16EvPT2_S4_b
    .private_segment_fixed_size: 272
    .sgpr_count:     10
    .sgpr_spill_count: 0
    .symbol:         _Z20warp_exchange_kernelILj64ELj16EN6common25StripedToBlockedShuffleOpE12hip_bfloat16EvPT2_S4_b.kd
    .uniform_work_group_size: 1
    .uses_dynamic_stack: false
    .vgpr_count:     170
    .vgpr_spill_count: 0
    .wavefront_size: 32
    .workgroup_processor_mode: 1
  - .args:
      - .address_space:  global
        .offset:         0
        .size:           8
        .value_kind:     global_buffer
      - .address_space:  global
        .offset:         8
        .size:           8
        .value_kind:     global_buffer
      - .offset:         16
        .size:           1
        .value_kind:     by_value
    .group_segment_fixed_size: 0
    .kernarg_segment_align: 8
    .kernarg_segment_size: 20
    .language:       OpenCL C
    .language_version:
      - 2
      - 0
    .max_flat_workgroup_size: 1024
    .name:           _Z20warp_exchange_kernelILj64ELj8EN6common25StripedToBlockedShuffleOpElEvPT2_S3_b
    .private_segment_fixed_size: 1360
    .sgpr_count:     10
    .sgpr_spill_count: 0
    .symbol:         _Z20warp_exchange_kernelILj64ELj8EN6common25StripedToBlockedShuffleOpElEvPT2_S3_b.kd
    .uniform_work_group_size: 1
    .uses_dynamic_stack: false
    .vgpr_count:     192
    .vgpr_spill_count: 80
    .wavefront_size: 32
    .workgroup_processor_mode: 1
  - .args:
      - .address_space:  global
        .offset:         0
        .size:           8
        .value_kind:     global_buffer
      - .address_space:  global
        .offset:         8
        .size:           8
        .value_kind:     global_buffer
      - .offset:         16
        .size:           1
        .value_kind:     by_value
    .group_segment_fixed_size: 0
    .kernarg_segment_align: 8
    .kernarg_segment_size: 20
    .language:       OpenCL C
    .language_version:
      - 2
      - 0
    .max_flat_workgroup_size: 1024
    .name:           _Z20warp_exchange_kernelILj32ELj8EN6common25StripedToBlockedShuffleOpEiEvPT2_S3_b
    .private_segment_fixed_size: 272
    .sgpr_count:     10
    .sgpr_spill_count: 0
    .symbol:         _Z20warp_exchange_kernelILj32ELj8EN6common25StripedToBlockedShuffleOpEiEvPT2_S3_b.kd
    .uniform_work_group_size: 1
    .uses_dynamic_stack: false
    .vgpr_count:     74
    .vgpr_spill_count: 0
    .wavefront_size: 32
    .workgroup_processor_mode: 1
  - .args:
      - .address_space:  global
        .offset:         0
        .size:           8
        .value_kind:     global_buffer
      - .address_space:  global
        .offset:         8
        .size:           8
        .value_kind:     global_buffer
      - .offset:         16
        .size:           1
        .value_kind:     by_value
    .group_segment_fixed_size: 0
    .kernarg_segment_align: 8
    .kernarg_segment_size: 20
    .language:       OpenCL C
    .language_version:
      - 2
      - 0
    .max_flat_workgroup_size: 1024
    .name:           _Z20warp_exchange_kernelILj32ELj64EN6common25StripedToBlockedShuffleOpEaEvPT2_S3_b
    .private_segment_fixed_size: 0
    .sgpr_count:     0
    .sgpr_spill_count: 0
    .symbol:         _Z20warp_exchange_kernelILj32ELj64EN6common25StripedToBlockedShuffleOpEaEvPT2_S3_b.kd
    .uniform_work_group_size: 1
    .uses_dynamic_stack: false
    .vgpr_count:     0
    .vgpr_spill_count: 0
    .wavefront_size: 32
    .workgroup_processor_mode: 1
  - .args:
      - .address_space:  global
        .offset:         0
        .size:           8
        .value_kind:     global_buffer
      - .address_space:  global
        .offset:         8
        .size:           8
        .value_kind:     global_buffer
      - .offset:         16
        .size:           1
        .value_kind:     by_value
    .group_segment_fixed_size: 65536
    .kernarg_segment_align: 8
    .kernarg_segment_size: 20
    .language:       OpenCL C
    .language_version:
      - 2
      - 0
    .max_flat_workgroup_size: 1024
    .name:           _Z20warp_exchange_kernelILj8ELj32EN6common25StripedToBlockedShuffleOpEdEvPT2_S3_b
    .private_segment_fixed_size: 144
    .sgpr_count:     10
    .sgpr_spill_count: 0
    .symbol:         _Z20warp_exchange_kernelILj8ELj32EN6common25StripedToBlockedShuffleOpEdEvPT2_S3_b.kd
    .uniform_work_group_size: 1
    .uses_dynamic_stack: false
    .vgpr_count:     53
    .vgpr_spill_count: 0
    .wavefront_size: 32
    .workgroup_processor_mode: 1
  - .args:
      - .address_space:  global
        .offset:         0
        .size:           8
        .value_kind:     global_buffer
      - .address_space:  global
        .offset:         8
        .size:           8
        .value_kind:     global_buffer
      - .offset:         16
        .size:           1
        .value_kind:     by_value
    .group_segment_fixed_size: 0
    .kernarg_segment_align: 8
    .kernarg_segment_size: 20
    .language:       OpenCL C
    .language_version:
      - 2
      - 0
    .max_flat_workgroup_size: 1024
    .name:           _Z20warp_exchange_kernelILj16ELj64EN6common25StripedToBlockedShuffleOpEfEvPT2_S3_b
    .private_segment_fixed_size: 0
    .sgpr_count:     0
    .sgpr_spill_count: 0
    .symbol:         _Z20warp_exchange_kernelILj16ELj64EN6common25StripedToBlockedShuffleOpEfEvPT2_S3_b.kd
    .uniform_work_group_size: 1
    .uses_dynamic_stack: false
    .vgpr_count:     0
    .vgpr_spill_count: 0
    .wavefront_size: 32
    .workgroup_processor_mode: 1
  - .args:
      - .address_space:  global
        .offset:         0
        .size:           8
        .value_kind:     global_buffer
      - .address_space:  global
        .offset:         8
        .size:           8
        .value_kind:     global_buffer
      - .offset:         16
        .size:           1
        .value_kind:     by_value
    .group_segment_fixed_size: 32768
    .kernarg_segment_align: 8
    .kernarg_segment_size: 20
    .language:       OpenCL C
    .language_version:
      - 2
      - 0
    .max_flat_workgroup_size: 1024
    .name:           _Z20warp_exchange_kernelILj8ELj8EN6common25StripedToBlockedShuffleOpE12hip_bfloat16EvPT2_S4_b
    .private_segment_fixed_size: 0
    .sgpr_count:     10
    .sgpr_spill_count: 0
    .symbol:         _Z20warp_exchange_kernelILj8ELj8EN6common25StripedToBlockedShuffleOpE12hip_bfloat16EvPT2_S4_b.kd
    .uniform_work_group_size: 1
    .uses_dynamic_stack: false
    .vgpr_count:     20
    .vgpr_spill_count: 0
    .wavefront_size: 32
    .workgroup_processor_mode: 1
  - .args:
      - .address_space:  global
        .offset:         0
        .size:           8
        .value_kind:     global_buffer
      - .address_space:  global
        .offset:         8
        .size:           8
        .value_kind:     global_buffer
      - .offset:         16
        .size:           1
        .value_kind:     by_value
    .group_segment_fixed_size: 0
    .kernarg_segment_align: 8
    .kernarg_segment_size: 20
    .language:       OpenCL C
    .language_version:
      - 2
      - 0
    .max_flat_workgroup_size: 1024
    .name:           _Z20warp_exchange_kernelILj64ELj64EN6common25StripedToBlockedShuffleOpEdEvPT2_S3_b
    .private_segment_fixed_size: 0
    .sgpr_count:     0
    .sgpr_spill_count: 0
    .symbol:         _Z20warp_exchange_kernelILj64ELj64EN6common25StripedToBlockedShuffleOpEdEvPT2_S3_b.kd
    .uniform_work_group_size: 1
    .uses_dynamic_stack: false
    .vgpr_count:     0
    .vgpr_spill_count: 0
    .wavefront_size: 32
    .workgroup_processor_mode: 1
  - .args:
      - .address_space:  global
        .offset:         0
        .size:           8
        .value_kind:     global_buffer
      - .address_space:  global
        .offset:         8
        .size:           8
        .value_kind:     global_buffer
      - .offset:         16
        .size:           1
        .value_kind:     by_value
    .group_segment_fixed_size: 0
    .kernarg_segment_align: 8
    .kernarg_segment_size: 20
    .language:       OpenCL C
    .language_version:
      - 2
      - 0
    .max_flat_workgroup_size: 1024
    .name:           _Z20warp_exchange_kernelILj32ELj32EN6common25StripedToBlockedShuffleOpEfEvPT2_S3_b
    .private_segment_fixed_size: 144
    .sgpr_count:     10
    .sgpr_spill_count: 0
    .symbol:         _Z20warp_exchange_kernelILj32ELj32EN6common25StripedToBlockedShuffleOpEfEvPT2_S3_b.kd
    .uniform_work_group_size: 1
    .uses_dynamic_stack: false
    .vgpr_count:     69
    .vgpr_spill_count: 0
    .wavefront_size: 32
    .workgroup_processor_mode: 1
  - .args:
      - .address_space:  global
        .offset:         0
        .size:           8
        .value_kind:     global_buffer
      - .address_space:  global
        .offset:         8
        .size:           8
        .value_kind:     global_buffer
      - .offset:         16
        .size:           1
        .value_kind:     by_value
    .group_segment_fixed_size: 65536
    .kernarg_segment_align: 8
    .kernarg_segment_size: 20
    .language:       OpenCL C
    .language_version:
      - 2
      - 0
    .max_flat_workgroup_size: 1024
    .name:           _Z20warp_exchange_kernelILj8ELj8EN6common25StripedToBlockedShuffleOpElEvPT2_S3_b
    .private_segment_fixed_size: 80
    .sgpr_count:     10
    .sgpr_spill_count: 0
    .symbol:         _Z20warp_exchange_kernelILj8ELj8EN6common25StripedToBlockedShuffleOpElEvPT2_S3_b.kd
    .uniform_work_group_size: 1
    .uses_dynamic_stack: false
    .vgpr_count:     40
    .vgpr_spill_count: 0
    .wavefront_size: 32
    .workgroup_processor_mode: 1
  - .args:
      - .address_space:  global
        .offset:         0
        .size:           8
        .value_kind:     global_buffer
      - .address_space:  global
        .offset:         8
        .size:           8
        .value_kind:     global_buffer
      - .offset:         16
        .size:           1
        .value_kind:     by_value
    .group_segment_fixed_size: 65536
    .kernarg_segment_align: 8
    .kernarg_segment_size: 20
    .language:       OpenCL C
    .language_version:
      - 2
      - 0
    .max_flat_workgroup_size: 1024
    .name:           _Z20warp_exchange_kernelILj32ELj32EN6common25StripedToBlockedShuffleOpEsEvPT2_S3_b
    .private_segment_fixed_size: 80
    .sgpr_count:     10
    .sgpr_spill_count: 0
    .symbol:         _Z20warp_exchange_kernelILj32ELj32EN6common25StripedToBlockedShuffleOpEsEvPT2_S3_b.kd
    .uniform_work_group_size: 1
    .uses_dynamic_stack: false
    .vgpr_count:     52
    .vgpr_spill_count: 0
    .wavefront_size: 32
    .workgroup_processor_mode: 1
  - .args:
      - .address_space:  global
        .offset:         0
        .size:           8
        .value_kind:     global_buffer
      - .address_space:  global
        .offset:         8
        .size:           8
        .value_kind:     global_buffer
      - .offset:         16
        .size:           1
        .value_kind:     by_value
    .group_segment_fixed_size: 0
    .kernarg_segment_align: 8
    .kernarg_segment_size: 20
    .language:       OpenCL C
    .language_version:
      - 2
      - 0
    .max_flat_workgroup_size: 1024
    .name:           _Z20warp_exchange_kernelILj16ELj16EN6common25StripedToBlockedShuffleOpEaEvPT2_S3_b
    .private_segment_fixed_size: 0
    .sgpr_count:     102
    .sgpr_spill_count: 0
    .symbol:         _Z20warp_exchange_kernelILj16ELj16EN6common25StripedToBlockedShuffleOpEaEvPT2_S3_b.kd
    .uniform_work_group_size: 1
    .uses_dynamic_stack: false
    .vgpr_count:     41
    .vgpr_spill_count: 0
    .wavefront_size: 32
    .workgroup_processor_mode: 1
  - .args:
      - .address_space:  global
        .offset:         0
        .size:           8
        .value_kind:     global_buffer
      - .address_space:  global
        .offset:         8
        .size:           8
        .value_kind:     global_buffer
      - .offset:         16
        .size:           1
        .value_kind:     by_value
    .group_segment_fixed_size: 65536
    .kernarg_segment_align: 8
    .kernarg_segment_size: 20
    .language:       OpenCL C
    .language_version:
      - 2
      - 0
    .max_flat_workgroup_size: 1024
    .name:           _Z20warp_exchange_kernelILj8ELj8EN6common25StripedToBlockedShuffleOpEiEvPT2_S3_b
    .private_segment_fixed_size: 0
    .sgpr_count:     10
    .sgpr_spill_count: 0
    .symbol:         _Z20warp_exchange_kernelILj8ELj8EN6common25StripedToBlockedShuffleOpEiEvPT2_S3_b.kd
    .uniform_work_group_size: 1
    .uses_dynamic_stack: false
    .vgpr_count:     26
    .vgpr_spill_count: 0
    .wavefront_size: 32
    .workgroup_processor_mode: 1
  - .args:
      - .address_space:  global
        .offset:         0
        .size:           8
        .value_kind:     global_buffer
      - .address_space:  global
        .offset:         8
        .size:           8
        .value_kind:     global_buffer
      - .offset:         16
        .size:           1
        .value_kind:     by_value
    .group_segment_fixed_size: 32768
    .kernarg_segment_align: 8
    .kernarg_segment_size: 20
    .language:       OpenCL C
    .language_version:
      - 2
      - 0
    .max_flat_workgroup_size: 1024
    .name:           _Z20warp_exchange_kernelILj4ELj8EN6common25StripedToBlockedShuffleOpE12hip_bfloat16EvPT2_S4_b
    .private_segment_fixed_size: 0
    .sgpr_count:     10
    .sgpr_spill_count: 0
    .symbol:         _Z20warp_exchange_kernelILj4ELj8EN6common25StripedToBlockedShuffleOpE12hip_bfloat16EvPT2_S4_b.kd
    .uniform_work_group_size: 1
    .uses_dynamic_stack: false
    .vgpr_count:     20
    .vgpr_spill_count: 0
    .wavefront_size: 32
    .workgroup_processor_mode: 1
  - .args:
      - .address_space:  global
        .offset:         0
        .size:           8
        .value_kind:     global_buffer
      - .address_space:  global
        .offset:         8
        .size:           8
        .value_kind:     global_buffer
      - .offset:         16
        .size:           1
        .value_kind:     by_value
    .group_segment_fixed_size: 0
    .kernarg_segment_align: 8
    .kernarg_segment_size: 20
    .language:       OpenCL C
    .language_version:
      - 2
      - 0
    .max_flat_workgroup_size: 1024
    .name:           _Z20warp_exchange_kernelILj4ELj64EN6common25StripedToBlockedShuffleOpEdEvPT2_S3_b
    .private_segment_fixed_size: 0
    .sgpr_count:     0
    .sgpr_spill_count: 0
    .symbol:         _Z20warp_exchange_kernelILj4ELj64EN6common25StripedToBlockedShuffleOpEdEvPT2_S3_b.kd
    .uniform_work_group_size: 1
    .uses_dynamic_stack: false
    .vgpr_count:     0
    .vgpr_spill_count: 0
    .wavefront_size: 32
    .workgroup_processor_mode: 1
  - .args:
      - .address_space:  global
        .offset:         0
        .size:           8
        .value_kind:     global_buffer
      - .address_space:  global
        .offset:         8
        .size:           8
        .value_kind:     global_buffer
      - .offset:         16
        .size:           1
        .value_kind:     by_value
    .group_segment_fixed_size: 0
    .kernarg_segment_align: 8
    .kernarg_segment_size: 20
    .language:       OpenCL C
    .language_version:
      - 2
      - 0
    .max_flat_workgroup_size: 1024
    .name:           _Z20warp_exchange_kernelILj4ELj32EN6common25StripedToBlockedShuffleOpEfEvPT2_S3_b
    .private_segment_fixed_size: 0
    .sgpr_count:     10
    .sgpr_spill_count: 0
    .symbol:         _Z20warp_exchange_kernelILj4ELj32EN6common25StripedToBlockedShuffleOpEfEvPT2_S3_b.kd
    .uniform_work_group_size: 1
    .uses_dynamic_stack: false
    .vgpr_count:     23
    .vgpr_spill_count: 0
    .wavefront_size: 32
    .workgroup_processor_mode: 1
  - .args:
      - .address_space:  global
        .offset:         0
        .size:           8
        .value_kind:     global_buffer
      - .address_space:  global
        .offset:         8
        .size:           8
        .value_kind:     global_buffer
      - .offset:         16
        .size:           1
        .value_kind:     by_value
    .group_segment_fixed_size: 65536
    .kernarg_segment_align: 8
    .kernarg_segment_size: 20
    .language:       OpenCL C
    .language_version:
      - 2
      - 0
    .max_flat_workgroup_size: 1024
    .name:           _Z20warp_exchange_kernelILj4ELj8EN6common25StripedToBlockedShuffleOpElEvPT2_S3_b
    .private_segment_fixed_size: 48
    .sgpr_count:     10
    .sgpr_spill_count: 0
    .symbol:         _Z20warp_exchange_kernelILj4ELj8EN6common25StripedToBlockedShuffleOpElEvPT2_S3_b.kd
    .uniform_work_group_size: 1
    .uses_dynamic_stack: false
    .vgpr_count:     30
    .vgpr_spill_count: 0
    .wavefront_size: 32
    .workgroup_processor_mode: 1
  - .args:
      - .address_space:  global
        .offset:         0
        .size:           8
        .value_kind:     global_buffer
      - .address_space:  global
        .offset:         8
        .size:           8
        .value_kind:     global_buffer
      - .offset:         16
        .size:           1
        .value_kind:     by_value
    .group_segment_fixed_size: 0
    .kernarg_segment_align: 8
    .kernarg_segment_size: 20
    .language:       OpenCL C
    .language_version:
      - 2
      - 0
    .max_flat_workgroup_size: 1024
    .name:           _Z20warp_exchange_kernelILj2ELj32EN6common25StripedToBlockedShuffleOpEsEvPT2_S3_b
    .private_segment_fixed_size: 0
    .sgpr_count:     10
    .sgpr_spill_count: 0
    .symbol:         _Z20warp_exchange_kernelILj2ELj32EN6common25StripedToBlockedShuffleOpEsEvPT2_S3_b.kd
    .uniform_work_group_size: 1
    .uses_dynamic_stack: false
    .vgpr_count:     9
    .vgpr_spill_count: 0
    .wavefront_size: 32
    .workgroup_processor_mode: 1
  - .args:
      - .address_space:  global
        .offset:         0
        .size:           8
        .value_kind:     global_buffer
      - .address_space:  global
        .offset:         8
        .size:           8
        .value_kind:     global_buffer
      - .offset:         16
        .size:           1
        .value_kind:     by_value
    .group_segment_fixed_size: 0
    .kernarg_segment_align: 8
    .kernarg_segment_size: 20
    .language:       OpenCL C
    .language_version:
      - 2
      - 0
    .max_flat_workgroup_size: 1024
    .name:           _Z20warp_exchange_kernelILj4ELj16EN6common25StripedToBlockedShuffleOpEaEvPT2_S3_b
    .private_segment_fixed_size: 0
    .sgpr_count:     10
    .sgpr_spill_count: 0
    .symbol:         _Z20warp_exchange_kernelILj4ELj16EN6common25StripedToBlockedShuffleOpEaEvPT2_S3_b.kd
    .uniform_work_group_size: 1
    .uses_dynamic_stack: false
    .vgpr_count:     24
    .vgpr_spill_count: 0
    .wavefront_size: 32
    .workgroup_processor_mode: 1
  - .args:
      - .address_space:  global
        .offset:         0
        .size:           8
        .value_kind:     global_buffer
      - .address_space:  global
        .offset:         8
        .size:           8
        .value_kind:     global_buffer
      - .offset:         16
        .size:           1
        .value_kind:     by_value
    .group_segment_fixed_size: 0
    .kernarg_segment_align: 8
    .kernarg_segment_size: 20
    .language:       OpenCL C
    .language_version:
      - 2
      - 0
    .max_flat_workgroup_size: 1024
    .name:           _Z20warp_exchange_kernelILj4ELj8EN6common25StripedToBlockedShuffleOpEiEvPT2_S3_b
    .private_segment_fixed_size: 0
    .sgpr_count:     27
    .sgpr_spill_count: 0
    .symbol:         _Z20warp_exchange_kernelILj4ELj8EN6common25StripedToBlockedShuffleOpEiEvPT2_S3_b.kd
    .uniform_work_group_size: 1
    .uses_dynamic_stack: false
    .vgpr_count:     15
    .vgpr_spill_count: 0
    .wavefront_size: 32
    .workgroup_processor_mode: 1
  - .args:
      - .address_space:  global
        .offset:         0
        .size:           8
        .value_kind:     global_buffer
      - .address_space:  global
        .offset:         8
        .size:           8
        .value_kind:     global_buffer
      - .offset:         16
        .size:           1
        .value_kind:     by_value
    .group_segment_fixed_size: 512
    .kernarg_segment_align: 8
    .kernarg_segment_size: 20
    .language:       OpenCL C
    .language_version:
      - 2
      - 0
    .max_flat_workgroup_size: 1024
    .name:           _Z20warp_exchange_kernelILj4ELj8EN6common18StripedToBlockedOpE12hip_bfloat16EvPT2_S4_b
    .private_segment_fixed_size: 0
    .sgpr_count:     10
    .sgpr_spill_count: 0
    .symbol:         _Z20warp_exchange_kernelILj4ELj8EN6common18StripedToBlockedOpE12hip_bfloat16EvPT2_S4_b.kd
    .uniform_work_group_size: 1
    .uses_dynamic_stack: false
    .vgpr_count:     9
    .vgpr_spill_count: 0
    .wavefront_size: 32
    .workgroup_processor_mode: 1
  - .args:
      - .address_space:  global
        .offset:         0
        .size:           8
        .value_kind:     global_buffer
      - .address_space:  global
        .offset:         8
        .size:           8
        .value_kind:     global_buffer
      - .offset:         16
        .size:           1
        .value_kind:     by_value
    .group_segment_fixed_size: 2560
    .kernarg_segment_align: 8
    .kernarg_segment_size: 20
    .language:       OpenCL C
    .language_version:
      - 2
      - 0
    .max_flat_workgroup_size: 1024
    .name:           _Z20warp_exchange_kernelILj5ELj32EN6common18StripedToBlockedOpEdEvPT2_S3_b
    .private_segment_fixed_size: 0
    .sgpr_count:     10
    .sgpr_spill_count: 0
    .symbol:         _Z20warp_exchange_kernelILj5ELj32EN6common18StripedToBlockedOpEdEvPT2_S3_b.kd
    .uniform_work_group_size: 1
    .uses_dynamic_stack: false
    .vgpr_count:     15
    .vgpr_spill_count: 0
    .wavefront_size: 32
    .workgroup_processor_mode: 1
  - .args:
      - .address_space:  global
        .offset:         0
        .size:           8
        .value_kind:     global_buffer
      - .address_space:  global
        .offset:         8
        .size:           8
        .value_kind:     global_buffer
      - .offset:         16
        .size:           1
        .value_kind:     by_value
    .group_segment_fixed_size: 1024
    .kernarg_segment_align: 8
    .kernarg_segment_size: 20
    .language:       OpenCL C
    .language_version:
      - 2
      - 0
    .max_flat_workgroup_size: 1024
    .name:           _Z20warp_exchange_kernelILj4ELj32EN6common18StripedToBlockedOpEfEvPT2_S3_b
    .private_segment_fixed_size: 0
    .sgpr_count:     10
    .sgpr_spill_count: 0
    .symbol:         _Z20warp_exchange_kernelILj4ELj32EN6common18StripedToBlockedOpEfEvPT2_S3_b.kd
    .uniform_work_group_size: 1
    .uses_dynamic_stack: false
    .vgpr_count:     9
    .vgpr_spill_count: 0
    .wavefront_size: 32
    .workgroup_processor_mode: 1
  - .args:
      - .address_space:  global
        .offset:         0
        .size:           8
        .value_kind:     global_buffer
      - .address_space:  global
        .offset:         8
        .size:           8
        .value_kind:     global_buffer
      - .offset:         16
        .size:           1
        .value_kind:     by_value
    .group_segment_fixed_size: 0
    .kernarg_segment_align: 8
    .kernarg_segment_size: 20
    .language:       OpenCL C
    .language_version:
      - 2
      - 0
    .max_flat_workgroup_size: 1024
    .name:           _Z20warp_exchange_kernelILj4ELj64EN6common18StripedToBlockedOpElEvPT2_S3_b
    .private_segment_fixed_size: 0
    .sgpr_count:     0
    .sgpr_spill_count: 0
    .symbol:         _Z20warp_exchange_kernelILj4ELj64EN6common18StripedToBlockedOpElEvPT2_S3_b.kd
    .uniform_work_group_size: 1
    .uses_dynamic_stack: false
    .vgpr_count:     0
    .vgpr_spill_count: 0
    .wavefront_size: 32
    .workgroup_processor_mode: 1
  - .args:
      - .address_space:  global
        .offset:         0
        .size:           8
        .value_kind:     global_buffer
      - .address_space:  global
        .offset:         8
        .size:           8
        .value_kind:     global_buffer
      - .offset:         16
        .size:           1
        .value_kind:     by_value
    .group_segment_fixed_size: 256
    .kernarg_segment_align: 8
    .kernarg_segment_size: 20
    .language:       OpenCL C
    .language_version:
      - 2
      - 0
    .max_flat_workgroup_size: 1024
    .name:           _Z20warp_exchange_kernelILj2ELj32EN6common18StripedToBlockedOpEsEvPT2_S3_b
    .private_segment_fixed_size: 0
    .sgpr_count:     10
    .sgpr_spill_count: 0
    .symbol:         _Z20warp_exchange_kernelILj2ELj32EN6common18StripedToBlockedOpEsEvPT2_S3_b.kd
    .uniform_work_group_size: 1
    .uses_dynamic_stack: false
    .vgpr_count:     7
    .vgpr_spill_count: 0
    .wavefront_size: 32
    .workgroup_processor_mode: 1
  - .args:
      - .address_space:  global
        .offset:         0
        .size:           8
        .value_kind:     global_buffer
      - .address_space:  global
        .offset:         8
        .size:           8
        .value_kind:     global_buffer
      - .offset:         16
        .size:           1
        .value_kind:     by_value
    .group_segment_fixed_size: 256
    .kernarg_segment_align: 8
    .kernarg_segment_size: 20
    .language:       OpenCL C
    .language_version:
      - 2
      - 0
    .max_flat_workgroup_size: 1024
    .name:           _Z20warp_exchange_kernelILj4ELj16EN6common18StripedToBlockedOpEaEvPT2_S3_b
    .private_segment_fixed_size: 0
    .sgpr_count:     10
    .sgpr_spill_count: 0
    .symbol:         _Z20warp_exchange_kernelILj4ELj16EN6common18StripedToBlockedOpEaEvPT2_S3_b.kd
    .uniform_work_group_size: 1
    .uses_dynamic_stack: false
    .vgpr_count:     8
    .vgpr_spill_count: 0
    .wavefront_size: 32
    .workgroup_processor_mode: 1
  - .args:
      - .address_space:  global
        .offset:         0
        .size:           8
        .value_kind:     global_buffer
      - .address_space:  global
        .offset:         8
        .size:           8
        .value_kind:     global_buffer
      - .offset:         16
        .size:           1
        .value_kind:     by_value
    .group_segment_fixed_size: 1024
    .kernarg_segment_align: 8
    .kernarg_segment_size: 20
    .language:       OpenCL C
    .language_version:
      - 2
      - 0
    .max_flat_workgroup_size: 1024
    .name:           _Z20warp_exchange_kernelILj4ELj8EN6common18StripedToBlockedOpEiEvPT2_S3_b
    .private_segment_fixed_size: 0
    .sgpr_count:     10
    .sgpr_spill_count: 0
    .symbol:         _Z20warp_exchange_kernelILj4ELj8EN6common18StripedToBlockedOpEiEvPT2_S3_b.kd
    .uniform_work_group_size: 1
    .uses_dynamic_stack: false
    .vgpr_count:     9
    .vgpr_spill_count: 0
    .wavefront_size: 32
    .workgroup_processor_mode: 1
  - .args:
      - .address_space:  global
        .offset:         0
        .size:           8
        .value_kind:     global_buffer
      - .address_space:  global
        .offset:         8
        .size:           8
        .value_kind:     global_buffer
      - .offset:         16
        .size:           1
        .value_kind:     by_value
    .group_segment_fixed_size: 0
    .kernarg_segment_align: 8
    .kernarg_segment_size: 20
    .language:       OpenCL C
    .language_version:
      - 2
      - 0
    .max_flat_workgroup_size: 1024
    .name:           _Z20warp_exchange_kernelILj2ELj16EN6common25StripedToBlockedShuffleOpEfEvPT2_S3_b
    .private_segment_fixed_size: 0
    .sgpr_count:     10
    .sgpr_spill_count: 0
    .symbol:         _Z20warp_exchange_kernelILj2ELj16EN6common25StripedToBlockedShuffleOpEfEvPT2_S3_b.kd
    .uniform_work_group_size: 1
    .uses_dynamic_stack: false
    .vgpr_count:     9
    .vgpr_spill_count: 0
    .wavefront_size: 32
    .workgroup_processor_mode: 1
  - .args:
      - .address_space:  global
        .offset:         0
        .size:           8
        .value_kind:     global_buffer
      - .address_space:  global
        .offset:         8
        .size:           8
        .value_kind:     global_buffer
      - .offset:         16
        .size:           1
        .value_kind:     by_value
    .group_segment_fixed_size: 0
    .kernarg_segment_align: 8
    .kernarg_segment_size: 20
    .language:       OpenCL C
    .language_version:
      - 2
      - 0
    .max_flat_workgroup_size: 1024
    .name:           _Z20warp_exchange_kernelILj64ELj16EN6common25BlockedToStripedShuffleOpE12hip_bfloat16EvPT2_S4_b
    .private_segment_fixed_size: 272
    .sgpr_count:     10
    .sgpr_spill_count: 0
    .symbol:         _Z20warp_exchange_kernelILj64ELj16EN6common25BlockedToStripedShuffleOpE12hip_bfloat16EvPT2_S4_b.kd
    .uniform_work_group_size: 1
    .uses_dynamic_stack: false
    .vgpr_count:     136
    .vgpr_spill_count: 0
    .wavefront_size: 32
    .workgroup_processor_mode: 1
  - .args:
      - .address_space:  global
        .offset:         0
        .size:           8
        .value_kind:     global_buffer
      - .address_space:  global
        .offset:         8
        .size:           8
        .value_kind:     global_buffer
      - .offset:         16
        .size:           1
        .value_kind:     by_value
    .group_segment_fixed_size: 0
    .kernarg_segment_align: 8
    .kernarg_segment_size: 20
    .language:       OpenCL C
    .language_version:
      - 2
      - 0
    .max_flat_workgroup_size: 1024
    .name:           _Z20warp_exchange_kernelILj64ELj8EN6common25BlockedToStripedShuffleOpElEvPT2_S3_b
    .private_segment_fixed_size: 1312
    .sgpr_count:     10
    .sgpr_spill_count: 0
    .symbol:         _Z20warp_exchange_kernelILj64ELj8EN6common25BlockedToStripedShuffleOpElEvPT2_S3_b.kd
    .uniform_work_group_size: 1
    .uses_dynamic_stack: false
    .vgpr_count:     191
    .vgpr_spill_count: 68
    .wavefront_size: 32
    .workgroup_processor_mode: 1
  - .args:
      - .address_space:  global
        .offset:         0
        .size:           8
        .value_kind:     global_buffer
      - .address_space:  global
        .offset:         8
        .size:           8
        .value_kind:     global_buffer
      - .offset:         16
        .size:           1
        .value_kind:     by_value
    .group_segment_fixed_size: 0
    .kernarg_segment_align: 8
    .kernarg_segment_size: 20
    .language:       OpenCL C
    .language_version:
      - 2
      - 0
    .max_flat_workgroup_size: 1024
    .name:           _Z20warp_exchange_kernelILj32ELj8EN6common25BlockedToStripedShuffleOpEiEvPT2_S3_b
    .private_segment_fixed_size: 272
    .sgpr_count:     10
    .sgpr_spill_count: 0
    .symbol:         _Z20warp_exchange_kernelILj32ELj8EN6common25BlockedToStripedShuffleOpEiEvPT2_S3_b.kd
    .uniform_work_group_size: 1
    .uses_dynamic_stack: false
    .vgpr_count:     80
    .vgpr_spill_count: 0
    .wavefront_size: 32
    .workgroup_processor_mode: 1
  - .args:
      - .address_space:  global
        .offset:         0
        .size:           8
        .value_kind:     global_buffer
      - .address_space:  global
        .offset:         8
        .size:           8
        .value_kind:     global_buffer
      - .offset:         16
        .size:           1
        .value_kind:     by_value
    .group_segment_fixed_size: 0
    .kernarg_segment_align: 8
    .kernarg_segment_size: 20
    .language:       OpenCL C
    .language_version:
      - 2
      - 0
    .max_flat_workgroup_size: 1024
    .name:           _Z20warp_exchange_kernelILj32ELj64EN6common25BlockedToStripedShuffleOpEaEvPT2_S3_b
    .private_segment_fixed_size: 0
    .sgpr_count:     0
    .sgpr_spill_count: 0
    .symbol:         _Z20warp_exchange_kernelILj32ELj64EN6common25BlockedToStripedShuffleOpEaEvPT2_S3_b.kd
    .uniform_work_group_size: 1
    .uses_dynamic_stack: false
    .vgpr_count:     0
    .vgpr_spill_count: 0
    .wavefront_size: 32
    .workgroup_processor_mode: 1
  - .args:
      - .address_space:  global
        .offset:         0
        .size:           8
        .value_kind:     global_buffer
      - .address_space:  global
        .offset:         8
        .size:           8
        .value_kind:     global_buffer
      - .offset:         16
        .size:           1
        .value_kind:     by_value
    .group_segment_fixed_size: 0
    .kernarg_segment_align: 8
    .kernarg_segment_size: 20
    .language:       OpenCL C
    .language_version:
      - 2
      - 0
    .max_flat_workgroup_size: 1024
    .name:           _Z20warp_exchange_kernelILj8ELj32EN6common25BlockedToStripedShuffleOpEdEvPT2_S3_b
    .private_segment_fixed_size: 0
    .sgpr_count:     10
    .sgpr_spill_count: 0
    .symbol:         _Z20warp_exchange_kernelILj8ELj32EN6common25BlockedToStripedShuffleOpEdEvPT2_S3_b.kd
    .uniform_work_group_size: 1
    .uses_dynamic_stack: false
    .vgpr_count:     58
    .vgpr_spill_count: 0
    .wavefront_size: 32
    .workgroup_processor_mode: 1
  - .args:
      - .address_space:  global
        .offset:         0
        .size:           8
        .value_kind:     global_buffer
      - .address_space:  global
        .offset:         8
        .size:           8
        .value_kind:     global_buffer
      - .offset:         16
        .size:           1
        .value_kind:     by_value
    .group_segment_fixed_size: 0
    .kernarg_segment_align: 8
    .kernarg_segment_size: 20
    .language:       OpenCL C
    .language_version:
      - 2
      - 0
    .max_flat_workgroup_size: 1024
    .name:           _Z20warp_exchange_kernelILj16ELj64EN6common25BlockedToStripedShuffleOpEfEvPT2_S3_b
    .private_segment_fixed_size: 0
    .sgpr_count:     0
    .sgpr_spill_count: 0
    .symbol:         _Z20warp_exchange_kernelILj16ELj64EN6common25BlockedToStripedShuffleOpEfEvPT2_S3_b.kd
    .uniform_work_group_size: 1
    .uses_dynamic_stack: false
    .vgpr_count:     0
    .vgpr_spill_count: 0
    .wavefront_size: 32
    .workgroup_processor_mode: 1
  - .args:
      - .address_space:  global
        .offset:         0
        .size:           8
        .value_kind:     global_buffer
      - .address_space:  global
        .offset:         8
        .size:           8
        .value_kind:     global_buffer
      - .offset:         16
        .size:           1
        .value_kind:     by_value
    .group_segment_fixed_size: 32768
    .kernarg_segment_align: 8
    .kernarg_segment_size: 20
    .language:       OpenCL C
    .language_version:
      - 2
      - 0
    .max_flat_workgroup_size: 1024
    .name:           _Z20warp_exchange_kernelILj8ELj8EN6common25BlockedToStripedShuffleOpE12hip_bfloat16EvPT2_S4_b
    .private_segment_fixed_size: 0
    .sgpr_count:     10
    .sgpr_spill_count: 0
    .symbol:         _Z20warp_exchange_kernelILj8ELj8EN6common25BlockedToStripedShuffleOpE12hip_bfloat16EvPT2_S4_b.kd
    .uniform_work_group_size: 1
    .uses_dynamic_stack: false
    .vgpr_count:     20
    .vgpr_spill_count: 0
    .wavefront_size: 32
    .workgroup_processor_mode: 1
  - .args:
      - .address_space:  global
        .offset:         0
        .size:           8
        .value_kind:     global_buffer
      - .address_space:  global
        .offset:         8
        .size:           8
        .value_kind:     global_buffer
      - .offset:         16
        .size:           1
        .value_kind:     by_value
    .group_segment_fixed_size: 0
    .kernarg_segment_align: 8
    .kernarg_segment_size: 20
    .language:       OpenCL C
    .language_version:
      - 2
      - 0
    .max_flat_workgroup_size: 1024
    .name:           _Z20warp_exchange_kernelILj64ELj64EN6common25BlockedToStripedShuffleOpEdEvPT2_S3_b
    .private_segment_fixed_size: 0
    .sgpr_count:     0
    .sgpr_spill_count: 0
    .symbol:         _Z20warp_exchange_kernelILj64ELj64EN6common25BlockedToStripedShuffleOpEdEvPT2_S3_b.kd
    .uniform_work_group_size: 1
    .uses_dynamic_stack: false
    .vgpr_count:     0
    .vgpr_spill_count: 0
    .wavefront_size: 32
    .workgroup_processor_mode: 1
  - .args:
      - .address_space:  global
        .offset:         0
        .size:           8
        .value_kind:     global_buffer
      - .address_space:  global
        .offset:         8
        .size:           8
        .value_kind:     global_buffer
      - .offset:         16
        .size:           1
        .value_kind:     by_value
    .group_segment_fixed_size: 0
    .kernarg_segment_align: 8
    .kernarg_segment_size: 20
    .language:       OpenCL C
    .language_version:
      - 2
      - 0
    .max_flat_workgroup_size: 1024
    .name:           _Z20warp_exchange_kernelILj32ELj32EN6common25BlockedToStripedShuffleOpEfEvPT2_S3_b
    .private_segment_fixed_size: 144
    .sgpr_count:     10
    .sgpr_spill_count: 0
    .symbol:         _Z20warp_exchange_kernelILj32ELj32EN6common25BlockedToStripedShuffleOpEfEvPT2_S3_b.kd
    .uniform_work_group_size: 1
    .uses_dynamic_stack: false
    .vgpr_count:     69
    .vgpr_spill_count: 0
    .wavefront_size: 32
    .workgroup_processor_mode: 1
  - .args:
      - .address_space:  global
        .offset:         0
        .size:           8
        .value_kind:     global_buffer
      - .address_space:  global
        .offset:         8
        .size:           8
        .value_kind:     global_buffer
      - .offset:         16
        .size:           1
        .value_kind:     by_value
    .group_segment_fixed_size: 65536
    .kernarg_segment_align: 8
    .kernarg_segment_size: 20
    .language:       OpenCL C
    .language_version:
      - 2
      - 0
    .max_flat_workgroup_size: 1024
    .name:           _Z20warp_exchange_kernelILj8ELj8EN6common25BlockedToStripedShuffleOpElEvPT2_S3_b
    .private_segment_fixed_size: 80
    .sgpr_count:     10
    .sgpr_spill_count: 0
    .symbol:         _Z20warp_exchange_kernelILj8ELj8EN6common25BlockedToStripedShuffleOpElEvPT2_S3_b.kd
    .uniform_work_group_size: 1
    .uses_dynamic_stack: false
    .vgpr_count:     40
    .vgpr_spill_count: 0
    .wavefront_size: 32
    .workgroup_processor_mode: 1
  - .args:
      - .address_space:  global
        .offset:         0
        .size:           8
        .value_kind:     global_buffer
      - .address_space:  global
        .offset:         8
        .size:           8
        .value_kind:     global_buffer
      - .offset:         16
        .size:           1
        .value_kind:     by_value
    .group_segment_fixed_size: 65536
    .kernarg_segment_align: 8
    .kernarg_segment_size: 20
    .language:       OpenCL C
    .language_version:
      - 2
      - 0
    .max_flat_workgroup_size: 1024
    .name:           _Z20warp_exchange_kernelILj32ELj32EN6common25BlockedToStripedShuffleOpEsEvPT2_S3_b
    .private_segment_fixed_size: 80
    .sgpr_count:     10
    .sgpr_spill_count: 0
    .symbol:         _Z20warp_exchange_kernelILj32ELj32EN6common25BlockedToStripedShuffleOpEsEvPT2_S3_b.kd
    .uniform_work_group_size: 1
    .uses_dynamic_stack: false
    .vgpr_count:     52
    .vgpr_spill_count: 0
    .wavefront_size: 32
    .workgroup_processor_mode: 1
  - .args:
      - .address_space:  global
        .offset:         0
        .size:           8
        .value_kind:     global_buffer
      - .address_space:  global
        .offset:         8
        .size:           8
        .value_kind:     global_buffer
      - .offset:         16
        .size:           1
        .value_kind:     by_value
    .group_segment_fixed_size: 0
    .kernarg_segment_align: 8
    .kernarg_segment_size: 20
    .language:       OpenCL C
    .language_version:
      - 2
      - 0
    .max_flat_workgroup_size: 1024
    .name:           _Z20warp_exchange_kernelILj16ELj16EN6common25BlockedToStripedShuffleOpEaEvPT2_S3_b
    .private_segment_fixed_size: 0
    .sgpr_count:     102
    .sgpr_spill_count: 0
    .symbol:         _Z20warp_exchange_kernelILj16ELj16EN6common25BlockedToStripedShuffleOpEaEvPT2_S3_b.kd
    .uniform_work_group_size: 1
    .uses_dynamic_stack: false
    .vgpr_count:     41
    .vgpr_spill_count: 0
    .wavefront_size: 32
    .workgroup_processor_mode: 1
  - .args:
      - .address_space:  global
        .offset:         0
        .size:           8
        .value_kind:     global_buffer
      - .address_space:  global
        .offset:         8
        .size:           8
        .value_kind:     global_buffer
      - .offset:         16
        .size:           1
        .value_kind:     by_value
    .group_segment_fixed_size: 65536
    .kernarg_segment_align: 8
    .kernarg_segment_size: 20
    .language:       OpenCL C
    .language_version:
      - 2
      - 0
    .max_flat_workgroup_size: 1024
    .name:           _Z20warp_exchange_kernelILj8ELj8EN6common25BlockedToStripedShuffleOpEiEvPT2_S3_b
    .private_segment_fixed_size: 0
    .sgpr_count:     10
    .sgpr_spill_count: 0
    .symbol:         _Z20warp_exchange_kernelILj8ELj8EN6common25BlockedToStripedShuffleOpEiEvPT2_S3_b.kd
    .uniform_work_group_size: 1
    .uses_dynamic_stack: false
    .vgpr_count:     26
    .vgpr_spill_count: 0
    .wavefront_size: 32
    .workgroup_processor_mode: 1
  - .args:
      - .address_space:  global
        .offset:         0
        .size:           8
        .value_kind:     global_buffer
      - .address_space:  global
        .offset:         8
        .size:           8
        .value_kind:     global_buffer
      - .offset:         16
        .size:           1
        .value_kind:     by_value
    .group_segment_fixed_size: 32768
    .kernarg_segment_align: 8
    .kernarg_segment_size: 20
    .language:       OpenCL C
    .language_version:
      - 2
      - 0
    .max_flat_workgroup_size: 1024
    .name:           _Z20warp_exchange_kernelILj4ELj8EN6common25BlockedToStripedShuffleOpE12hip_bfloat16EvPT2_S4_b
    .private_segment_fixed_size: 0
    .sgpr_count:     10
    .sgpr_spill_count: 0
    .symbol:         _Z20warp_exchange_kernelILj4ELj8EN6common25BlockedToStripedShuffleOpE12hip_bfloat16EvPT2_S4_b.kd
    .uniform_work_group_size: 1
    .uses_dynamic_stack: false
    .vgpr_count:     20
    .vgpr_spill_count: 0
    .wavefront_size: 32
    .workgroup_processor_mode: 1
  - .args:
      - .address_space:  global
        .offset:         0
        .size:           8
        .value_kind:     global_buffer
      - .address_space:  global
        .offset:         8
        .size:           8
        .value_kind:     global_buffer
      - .offset:         16
        .size:           1
        .value_kind:     by_value
    .group_segment_fixed_size: 0
    .kernarg_segment_align: 8
    .kernarg_segment_size: 20
    .language:       OpenCL C
    .language_version:
      - 2
      - 0
    .max_flat_workgroup_size: 1024
    .name:           _Z20warp_exchange_kernelILj4ELj64EN6common25BlockedToStripedShuffleOpEdEvPT2_S3_b
    .private_segment_fixed_size: 0
    .sgpr_count:     0
    .sgpr_spill_count: 0
    .symbol:         _Z20warp_exchange_kernelILj4ELj64EN6common25BlockedToStripedShuffleOpEdEvPT2_S3_b.kd
    .uniform_work_group_size: 1
    .uses_dynamic_stack: false
    .vgpr_count:     0
    .vgpr_spill_count: 0
    .wavefront_size: 32
    .workgroup_processor_mode: 1
  - .args:
      - .address_space:  global
        .offset:         0
        .size:           8
        .value_kind:     global_buffer
      - .address_space:  global
        .offset:         8
        .size:           8
        .value_kind:     global_buffer
      - .offset:         16
        .size:           1
        .value_kind:     by_value
    .group_segment_fixed_size: 0
    .kernarg_segment_align: 8
    .kernarg_segment_size: 20
    .language:       OpenCL C
    .language_version:
      - 2
      - 0
    .max_flat_workgroup_size: 1024
    .name:           _Z20warp_exchange_kernelILj4ELj32EN6common25BlockedToStripedShuffleOpEfEvPT2_S3_b
    .private_segment_fixed_size: 0
    .sgpr_count:     10
    .sgpr_spill_count: 0
    .symbol:         _Z20warp_exchange_kernelILj4ELj32EN6common25BlockedToStripedShuffleOpEfEvPT2_S3_b.kd
    .uniform_work_group_size: 1
    .uses_dynamic_stack: false
    .vgpr_count:     24
    .vgpr_spill_count: 0
    .wavefront_size: 32
    .workgroup_processor_mode: 1
  - .args:
      - .address_space:  global
        .offset:         0
        .size:           8
        .value_kind:     global_buffer
      - .address_space:  global
        .offset:         8
        .size:           8
        .value_kind:     global_buffer
      - .offset:         16
        .size:           1
        .value_kind:     by_value
    .group_segment_fixed_size: 0
    .kernarg_segment_align: 8
    .kernarg_segment_size: 20
    .language:       OpenCL C
    .language_version:
      - 2
      - 0
    .max_flat_workgroup_size: 1024
    .name:           _Z20warp_exchange_kernelILj4ELj8EN6common25BlockedToStripedShuffleOpElEvPT2_S3_b
    .private_segment_fixed_size: 0
    .sgpr_count:     10
    .sgpr_spill_count: 0
    .symbol:         _Z20warp_exchange_kernelILj4ELj8EN6common25BlockedToStripedShuffleOpElEvPT2_S3_b.kd
    .uniform_work_group_size: 1
    .uses_dynamic_stack: false
    .vgpr_count:     27
    .vgpr_spill_count: 0
    .wavefront_size: 32
    .workgroup_processor_mode: 1
  - .args:
      - .address_space:  global
        .offset:         0
        .size:           8
        .value_kind:     global_buffer
      - .address_space:  global
        .offset:         8
        .size:           8
        .value_kind:     global_buffer
      - .offset:         16
        .size:           1
        .value_kind:     by_value
    .group_segment_fixed_size: 0
    .kernarg_segment_align: 8
    .kernarg_segment_size: 20
    .language:       OpenCL C
    .language_version:
      - 2
      - 0
    .max_flat_workgroup_size: 1024
    .name:           _Z20warp_exchange_kernelILj2ELj32EN6common25BlockedToStripedShuffleOpEsEvPT2_S3_b
    .private_segment_fixed_size: 0
    .sgpr_count:     10
    .sgpr_spill_count: 0
    .symbol:         _Z20warp_exchange_kernelILj2ELj32EN6common25BlockedToStripedShuffleOpEsEvPT2_S3_b.kd
    .uniform_work_group_size: 1
    .uses_dynamic_stack: false
    .vgpr_count:     9
    .vgpr_spill_count: 0
    .wavefront_size: 32
    .workgroup_processor_mode: 1
  - .args:
      - .address_space:  global
        .offset:         0
        .size:           8
        .value_kind:     global_buffer
      - .address_space:  global
        .offset:         8
        .size:           8
        .value_kind:     global_buffer
      - .offset:         16
        .size:           1
        .value_kind:     by_value
    .group_segment_fixed_size: 0
    .kernarg_segment_align: 8
    .kernarg_segment_size: 20
    .language:       OpenCL C
    .language_version:
      - 2
      - 0
    .max_flat_workgroup_size: 1024
    .name:           _Z20warp_exchange_kernelILj4ELj16EN6common25BlockedToStripedShuffleOpEaEvPT2_S3_b
    .private_segment_fixed_size: 0
    .sgpr_count:     10
    .sgpr_spill_count: 0
    .symbol:         _Z20warp_exchange_kernelILj4ELj16EN6common25BlockedToStripedShuffleOpEaEvPT2_S3_b.kd
    .uniform_work_group_size: 1
    .uses_dynamic_stack: false
    .vgpr_count:     23
    .vgpr_spill_count: 0
    .wavefront_size: 32
    .workgroup_processor_mode: 1
  - .args:
      - .address_space:  global
        .offset:         0
        .size:           8
        .value_kind:     global_buffer
      - .address_space:  global
        .offset:         8
        .size:           8
        .value_kind:     global_buffer
      - .offset:         16
        .size:           1
        .value_kind:     by_value
    .group_segment_fixed_size: 0
    .kernarg_segment_align: 8
    .kernarg_segment_size: 20
    .language:       OpenCL C
    .language_version:
      - 2
      - 0
    .max_flat_workgroup_size: 1024
    .name:           _Z20warp_exchange_kernelILj4ELj8EN6common25BlockedToStripedShuffleOpEiEvPT2_S3_b
    .private_segment_fixed_size: 0
    .sgpr_count:     26
    .sgpr_spill_count: 0
    .symbol:         _Z20warp_exchange_kernelILj4ELj8EN6common25BlockedToStripedShuffleOpEiEvPT2_S3_b.kd
    .uniform_work_group_size: 1
    .uses_dynamic_stack: false
    .vgpr_count:     15
    .vgpr_spill_count: 0
    .wavefront_size: 32
    .workgroup_processor_mode: 1
  - .args:
      - .address_space:  global
        .offset:         0
        .size:           8
        .value_kind:     global_buffer
      - .address_space:  global
        .offset:         8
        .size:           8
        .value_kind:     global_buffer
      - .offset:         16
        .size:           1
        .value_kind:     by_value
    .group_segment_fixed_size: 512
    .kernarg_segment_align: 8
    .kernarg_segment_size: 20
    .language:       OpenCL C
    .language_version:
      - 2
      - 0
    .max_flat_workgroup_size: 1024
    .name:           _Z20warp_exchange_kernelILj4ELj8EN6common18BlockedToStripedOpE12hip_bfloat16EvPT2_S4_b
    .private_segment_fixed_size: 0
    .sgpr_count:     10
    .sgpr_spill_count: 0
    .symbol:         _Z20warp_exchange_kernelILj4ELj8EN6common18BlockedToStripedOpE12hip_bfloat16EvPT2_S4_b.kd
    .uniform_work_group_size: 1
    .uses_dynamic_stack: false
    .vgpr_count:     8
    .vgpr_spill_count: 0
    .wavefront_size: 32
    .workgroup_processor_mode: 1
  - .args:
      - .address_space:  global
        .offset:         0
        .size:           8
        .value_kind:     global_buffer
      - .address_space:  global
        .offset:         8
        .size:           8
        .value_kind:     global_buffer
      - .offset:         16
        .size:           1
        .value_kind:     by_value
    .group_segment_fixed_size: 2560
    .kernarg_segment_align: 8
    .kernarg_segment_size: 20
    .language:       OpenCL C
    .language_version:
      - 2
      - 0
    .max_flat_workgroup_size: 1024
    .name:           _Z20warp_exchange_kernelILj5ELj32EN6common18BlockedToStripedOpEdEvPT2_S3_b
    .private_segment_fixed_size: 0
    .sgpr_count:     10
    .sgpr_spill_count: 0
    .symbol:         _Z20warp_exchange_kernelILj5ELj32EN6common18BlockedToStripedOpEdEvPT2_S3_b.kd
    .uniform_work_group_size: 1
    .uses_dynamic_stack: false
    .vgpr_count:     16
    .vgpr_spill_count: 0
    .wavefront_size: 32
    .workgroup_processor_mode: 1
  - .args:
      - .address_space:  global
        .offset:         0
        .size:           8
        .value_kind:     global_buffer
      - .address_space:  global
        .offset:         8
        .size:           8
        .value_kind:     global_buffer
      - .offset:         16
        .size:           1
        .value_kind:     by_value
    .group_segment_fixed_size: 1024
    .kernarg_segment_align: 8
    .kernarg_segment_size: 20
    .language:       OpenCL C
    .language_version:
      - 2
      - 0
    .max_flat_workgroup_size: 1024
    .name:           _Z20warp_exchange_kernelILj4ELj32EN6common18BlockedToStripedOpEfEvPT2_S3_b
    .private_segment_fixed_size: 0
    .sgpr_count:     10
    .sgpr_spill_count: 0
    .symbol:         _Z20warp_exchange_kernelILj4ELj32EN6common18BlockedToStripedOpEfEvPT2_S3_b.kd
    .uniform_work_group_size: 1
    .uses_dynamic_stack: false
    .vgpr_count:     10
    .vgpr_spill_count: 0
    .wavefront_size: 32
    .workgroup_processor_mode: 1
  - .args:
      - .address_space:  global
        .offset:         0
        .size:           8
        .value_kind:     global_buffer
      - .address_space:  global
        .offset:         8
        .size:           8
        .value_kind:     global_buffer
      - .offset:         16
        .size:           1
        .value_kind:     by_value
    .group_segment_fixed_size: 0
    .kernarg_segment_align: 8
    .kernarg_segment_size: 20
    .language:       OpenCL C
    .language_version:
      - 2
      - 0
    .max_flat_workgroup_size: 1024
    .name:           _Z20warp_exchange_kernelILj4ELj64EN6common18BlockedToStripedOpElEvPT2_S3_b
    .private_segment_fixed_size: 0
    .sgpr_count:     0
    .sgpr_spill_count: 0
    .symbol:         _Z20warp_exchange_kernelILj4ELj64EN6common18BlockedToStripedOpElEvPT2_S3_b.kd
    .uniform_work_group_size: 1
    .uses_dynamic_stack: false
    .vgpr_count:     0
    .vgpr_spill_count: 0
    .wavefront_size: 32
    .workgroup_processor_mode: 1
  - .args:
      - .address_space:  global
        .offset:         0
        .size:           8
        .value_kind:     global_buffer
      - .address_space:  global
        .offset:         8
        .size:           8
        .value_kind:     global_buffer
      - .offset:         16
        .size:           1
        .value_kind:     by_value
    .group_segment_fixed_size: 256
    .kernarg_segment_align: 8
    .kernarg_segment_size: 20
    .language:       OpenCL C
    .language_version:
      - 2
      - 0
    .max_flat_workgroup_size: 1024
    .name:           _Z20warp_exchange_kernelILj2ELj32EN6common18BlockedToStripedOpEsEvPT2_S3_b
    .private_segment_fixed_size: 0
    .sgpr_count:     10
    .sgpr_spill_count: 0
    .symbol:         _Z20warp_exchange_kernelILj2ELj32EN6common18BlockedToStripedOpEsEvPT2_S3_b.kd
    .uniform_work_group_size: 1
    .uses_dynamic_stack: false
    .vgpr_count:     7
    .vgpr_spill_count: 0
    .wavefront_size: 32
    .workgroup_processor_mode: 1
  - .args:
      - .address_space:  global
        .offset:         0
        .size:           8
        .value_kind:     global_buffer
      - .address_space:  global
        .offset:         8
        .size:           8
        .value_kind:     global_buffer
      - .offset:         16
        .size:           1
        .value_kind:     by_value
    .group_segment_fixed_size: 256
    .kernarg_segment_align: 8
    .kernarg_segment_size: 20
    .language:       OpenCL C
    .language_version:
      - 2
      - 0
    .max_flat_workgroup_size: 1024
    .name:           _Z20warp_exchange_kernelILj4ELj16EN6common18BlockedToStripedOpEaEvPT2_S3_b
    .private_segment_fixed_size: 0
    .sgpr_count:     10
    .sgpr_spill_count: 0
    .symbol:         _Z20warp_exchange_kernelILj4ELj16EN6common18BlockedToStripedOpEaEvPT2_S3_b.kd
    .uniform_work_group_size: 1
    .uses_dynamic_stack: false
    .vgpr_count:     7
    .vgpr_spill_count: 0
    .wavefront_size: 32
    .workgroup_processor_mode: 1
  - .args:
      - .address_space:  global
        .offset:         0
        .size:           8
        .value_kind:     global_buffer
      - .address_space:  global
        .offset:         8
        .size:           8
        .value_kind:     global_buffer
      - .offset:         16
        .size:           1
        .value_kind:     by_value
    .group_segment_fixed_size: 1024
    .kernarg_segment_align: 8
    .kernarg_segment_size: 20
    .language:       OpenCL C
    .language_version:
      - 2
      - 0
    .max_flat_workgroup_size: 1024
    .name:           _Z20warp_exchange_kernelILj4ELj8EN6common18BlockedToStripedOpEiEvPT2_S3_b
    .private_segment_fixed_size: 0
    .sgpr_count:     10
    .sgpr_spill_count: 0
    .symbol:         _Z20warp_exchange_kernelILj4ELj8EN6common18BlockedToStripedOpEiEvPT2_S3_b.kd
    .uniform_work_group_size: 1
    .uses_dynamic_stack: false
    .vgpr_count:     10
    .vgpr_spill_count: 0
    .wavefront_size: 32
    .workgroup_processor_mode: 1
  - .args:
      - .address_space:  global
        .offset:         0
        .size:           8
        .value_kind:     global_buffer
      - .address_space:  global
        .offset:         8
        .size:           8
        .value_kind:     global_buffer
      - .address_space:  global
        .offset:         16
        .size:           8
        .value_kind:     global_buffer
    .group_segment_fixed_size: 0
    .kernarg_segment_align: 8
    .kernarg_segment_size: 24
    .language:       OpenCL C
    .language_version:
      - 2
      - 0
    .max_flat_workgroup_size: 1024
    .name:           _Z28warp_exchange_scatter_kernelILj4ELj64EitEvPT1_S1_PT2_
    .private_segment_fixed_size: 0
    .sgpr_count:     0
    .sgpr_spill_count: 0
    .symbol:         _Z28warp_exchange_scatter_kernelILj4ELj64EitEvPT1_S1_PT2_.kd
    .uniform_work_group_size: 1
    .uses_dynamic_stack: false
    .vgpr_count:     0
    .vgpr_spill_count: 0
    .wavefront_size: 32
    .workgroup_processor_mode: 1
  - .args:
      - .address_space:  global
        .offset:         0
        .size:           8
        .value_kind:     global_buffer
      - .address_space:  global
        .offset:         8
        .size:           8
        .value_kind:     global_buffer
      - .address_space:  global
        .offset:         16
        .size:           8
        .value_kind:     global_buffer
    .group_segment_fixed_size: 640
    .kernarg_segment_align: 8
    .kernarg_segment_size: 24
    .language:       OpenCL C
    .language_version:
      - 2
      - 0
    .max_flat_workgroup_size: 1024
    .name:           _Z28warp_exchange_scatter_kernelILj5ELj32EitEvPT1_S1_PT2_
    .private_segment_fixed_size: 0
    .sgpr_count:     6
    .sgpr_spill_count: 0
    .symbol:         _Z28warp_exchange_scatter_kernelILj5ELj32EitEvPT1_S1_PT2_.kd
    .uniform_work_group_size: 1
    .uses_dynamic_stack: false
    .vgpr_count:     14
    .vgpr_spill_count: 0
    .wavefront_size: 32
    .workgroup_processor_mode: 1
  - .args:
      - .address_space:  global
        .offset:         0
        .size:           8
        .value_kind:     global_buffer
      - .address_space:  global
        .offset:         8
        .size:           8
        .value_kind:     global_buffer
      - .address_space:  global
        .offset:         16
        .size:           8
        .value_kind:     global_buffer
    .group_segment_fixed_size: 1024
    .kernarg_segment_align: 8
    .kernarg_segment_size: 24
    .language:       OpenCL C
    .language_version:
      - 2
      - 0
    .max_flat_workgroup_size: 1024
    .name:           _Z28warp_exchange_scatter_kernelILj4ELj32EltEvPT1_S1_PT2_
    .private_segment_fixed_size: 0
    .sgpr_count:     6
    .sgpr_spill_count: 0
    .symbol:         _Z28warp_exchange_scatter_kernelILj4ELj32EltEvPT1_S1_PT2_.kd
    .uniform_work_group_size: 1
    .uses_dynamic_stack: false
    .vgpr_count:     15
    .vgpr_spill_count: 0
    .wavefront_size: 32
    .workgroup_processor_mode: 1
  - .args:
      - .address_space:  global
        .offset:         0
        .size:           8
        .value_kind:     global_buffer
      - .address_space:  global
        .offset:         8
        .size:           8
        .value_kind:     global_buffer
      - .address_space:  global
        .offset:         16
        .size:           8
        .value_kind:     global_buffer
    .group_segment_fixed_size: 256
    .kernarg_segment_align: 8
    .kernarg_segment_size: 24
    .language:       OpenCL C
    .language_version:
      - 2
      - 0
    .max_flat_workgroup_size: 1024
    .name:           _Z28warp_exchange_scatter_kernelILj2ELj32EitEvPT1_S1_PT2_
    .private_segment_fixed_size: 0
    .sgpr_count:     6
    .sgpr_spill_count: 0
    .symbol:         _Z28warp_exchange_scatter_kernelILj2ELj32EitEvPT1_S1_PT2_.kd
    .uniform_work_group_size: 1
    .uses_dynamic_stack: false
    .vgpr_count:     7
    .vgpr_spill_count: 0
    .wavefront_size: 32
    .workgroup_processor_mode: 1
  - .args:
      - .address_space:  global
        .offset:         0
        .size:           8
        .value_kind:     global_buffer
      - .address_space:  global
        .offset:         8
        .size:           8
        .value_kind:     global_buffer
      - .address_space:  global
        .offset:         16
        .size:           8
        .value_kind:     global_buffer
    .group_segment_fixed_size: 256
    .kernarg_segment_align: 8
    .kernarg_segment_size: 24
    .language:       OpenCL C
    .language_version:
      - 2
      - 0
    .max_flat_workgroup_size: 1024
    .name:           _Z28warp_exchange_scatter_kernelILj4ELj16EstEvPT1_S1_PT2_
    .private_segment_fixed_size: 0
    .sgpr_count:     6
    .sgpr_spill_count: 0
    .symbol:         _Z28warp_exchange_scatter_kernelILj4ELj16EstEvPT1_S1_PT2_.kd
    .uniform_work_group_size: 1
    .uses_dynamic_stack: false
    .vgpr_count:     9
    .vgpr_spill_count: 0
    .wavefront_size: 32
    .workgroup_processor_mode: 1
  - .args:
      - .address_space:  global
        .offset:         0
        .size:           8
        .value_kind:     global_buffer
      - .address_space:  global
        .offset:         8
        .size:           8
        .value_kind:     global_buffer
      - .address_space:  global
        .offset:         16
        .size:           8
        .value_kind:     global_buffer
    .group_segment_fixed_size: 512
    .kernarg_segment_align: 8
    .kernarg_segment_size: 24
    .language:       OpenCL C
    .language_version:
      - 2
      - 0
    .max_flat_workgroup_size: 1024
    .name:           _Z28warp_exchange_scatter_kernelILj4ELj8EitEvPT1_S1_PT2_
    .private_segment_fixed_size: 0
    .sgpr_count:     6
    .sgpr_spill_count: 0
    .symbol:         _Z28warp_exchange_scatter_kernelILj4ELj8EitEvPT1_S1_PT2_.kd
    .uniform_work_group_size: 1
    .uses_dynamic_stack: false
    .vgpr_count:     11
    .vgpr_spill_count: 0
    .wavefront_size: 32
    .workgroup_processor_mode: 1
amdhsa.target:   amdgcn-amd-amdhsa--gfx1100
amdhsa.version:
  - 1
  - 2
...

	.end_amdgpu_metadata
